;; amdgpu-corpus repo=ROCm/rocFFT kind=compiled arch=gfx950 opt=O3
	.text
	.amdgcn_target "amdgcn-amd-amdhsa--gfx950"
	.amdhsa_code_object_version 6
	.protected	bluestein_single_back_len1680_dim1_sp_op_CI_CI ; -- Begin function bluestein_single_back_len1680_dim1_sp_op_CI_CI
	.globl	bluestein_single_back_len1680_dim1_sp_op_CI_CI
	.p2align	8
	.type	bluestein_single_back_len1680_dim1_sp_op_CI_CI,@function
bluestein_single_back_len1680_dim1_sp_op_CI_CI: ; @bluestein_single_back_len1680_dim1_sp_op_CI_CI
; %bb.0:
	s_load_dwordx4 s[8:11], s[0:1], 0x28
	v_mul_u32_u24_e32 v1, 0x24a, v0
	v_mov_b32_e32 v117, 0
	v_add_u32_sdwa v126, s2, v1 dst_sel:DWORD dst_unused:UNUSED_PAD src0_sel:DWORD src1_sel:WORD_1
	v_mov_b32_e32 v127, v117
	s_waitcnt lgkmcnt(0)
	v_cmp_gt_u64_e32 vcc, s[8:9], v[126:127]
	s_and_saveexec_b64 s[2:3], vcc
	s_cbranch_execz .LBB0_49
; %bb.1:
	s_load_dwordx4 s[4:7], s[0:1], 0x18
	s_load_dwordx2 s[14:15], s[0:1], 0x0
	v_mov_b32_e32 v2, s10
	v_mov_b32_e32 v3, s11
	s_movk_i32 s2, 0x70
	s_waitcnt lgkmcnt(0)
	s_load_dwordx4 s[8:11], s[4:5], 0x0
	v_mul_lo_u16_sdwa v1, v1, s2 dst_sel:DWORD dst_unused:UNUSED_PAD src0_sel:WORD_1 src1_sel:DWORD
	v_sub_u16_e32 v116, v0, v1
	v_lshlrev_b32_e32 v102, 3, v116
	v_mov_b32_e32 v103, v117
	s_waitcnt lgkmcnt(0)
	v_mad_u64_u32 v[0:1], s[2:3], s10, v126, 0
	v_mov_b32_e32 v4, v1
	v_mad_u64_u32 v[4:5], s[2:3], s11, v126, v[4:5]
	v_mov_b32_e32 v1, v4
	v_mad_u64_u32 v[4:5], s[2:3], s8, v116, 0
	v_mov_b32_e32 v6, v5
	v_mad_u64_u32 v[6:7], s[2:3], s9, v116, v[6:7]
	s_mul_i32 s2, s9, 0x348
	s_mul_hi_u32 s3, s8, 0x348
	v_mov_b32_e32 v5, v6
	v_lshl_add_u64 v[0:1], v[0:1], 3, v[2:3]
	s_add_i32 s3, s3, s2
	s_mul_i32 s2, s8, 0x348
	v_lshl_add_u64 v[0:1], v[4:5], 3, v[0:1]
	v_lshl_add_u64 v[100:101], s[14:15], 0, v[102:103]
	s_lshl_b64 s[10:11], s[2:3], 3
	s_movk_i32 s4, 0x1000
	v_lshl_add_u64 v[2:3], v[0:1], 0, s[10:11]
	global_load_dwordx2 v[4:5], v[0:1], off
	global_load_dwordx2 v[6:7], v[2:3], off
	v_add_co_u32_e32 v0, vcc, s4, v100
	s_mul_hi_u32 s5, s8, 0xfffffd28
	s_nop 0
	v_addc_co_u32_e32 v1, vcc, 0, v101, vcc
	s_mul_i32 s4, s9, 0xfffffd28
	s_sub_i32 s5, s5, s8
	global_load_dwordx2 v[132:133], v[0:1], off offset:2624
	global_load_dwordx2 v[134:135], v102, s[14:15]
	s_add_i32 s5, s5, s4
	s_mul_i32 s4, s8, 0xfffffd28
	s_lshl_b64 s[8:9], s[4:5], 3
	v_lshl_add_u64 v[2:3], v[2:3], 0, s[8:9]
	global_load_dwordx2 v[8:9], v[2:3], off
	global_load_dwordx2 v[130:131], v102, s[14:15] offset:896
	v_lshl_add_u64 v[2:3], v[2:3], 0, s[10:11]
	s_movk_i32 s12, 0x2000
	global_load_dwordx2 v[128:129], v[0:1], off offset:3520
	v_lshl_add_u64 v[10:11], v[2:3], 0, s[8:9]
	v_add_co_u32_e32 v16, vcc, s12, v100
	global_load_dwordx2 v[12:13], v[2:3], off
	global_load_dwordx2 v[14:15], v[10:11], off
	global_load_dwordx2 v[122:123], v102, s[14:15] offset:1792
	v_lshl_add_u64 v[2:3], v[10:11], 0, s[10:11]
	v_addc_co_u32_e32 v17, vcc, 0, v101, vcc
	global_load_dwordx2 v[10:11], v[2:3], off
	global_load_dwordx2 v[124:125], v[16:17], off offset:320
	v_lshl_add_u64 v[2:3], v[2:3], 0, s[8:9]
	global_load_dwordx2 v[18:19], v[2:3], off
	global_load_dwordx2 v[120:121], v102, s[14:15] offset:2688
	v_lshl_add_u64 v[2:3], v[2:3], 0, s[10:11]
	global_load_dwordx2 v[20:21], v[2:3], off
	global_load_dwordx2 v[118:119], v[16:17], off offset:1216
	v_lshl_add_u64 v[2:3], v[2:3], 0, s[8:9]
	global_load_dwordx2 v[22:23], v[2:3], off
	global_load_dwordx2 v[114:115], v102, s[14:15] offset:3584
	v_lshl_add_u64 v[2:3], v[2:3], 0, s[10:11]
	global_load_dwordx2 v[24:25], v[2:3], off
	global_load_dwordx2 v[112:113], v[16:17], off offset:2112
	v_lshl_add_u64 v[2:3], v[2:3], 0, s[8:9]
	global_load_dwordx2 v[26:27], v[2:3], off
	global_load_dwordx2 v[110:111], v[0:1], off offset:384
	;; [unrolled: 3-line block ×4, first 2 shown]
	v_lshl_add_u64 v[0:1], v[2:3], 0, s[10:11]
	global_load_dwordx2 v[104:105], v[16:17], off offset:3904
	global_load_dwordx2 v[32:33], v[0:1], off
	s_load_dwordx2 s[12:13], s[0:1], 0x38
	s_load_dwordx4 s[8:11], s[6:7], 0x0
	v_cmp_gt_u16_e64 s[6:7], 56, v116
	s_waitcnt vmcnt(24)
	v_mul_f32_e32 v2, v5, v135
	v_mul_f32_e32 v3, v4, v135
	v_fmac_f32_e32 v2, v4, v134
	v_fma_f32 v3, v5, v134, -v3
	v_mul_f32_e32 v4, v7, v133
	v_mul_f32_e32 v5, v6, v133
	v_fmac_f32_e32 v4, v6, v132
	v_fma_f32 v5, v7, v132, -v5
	s_waitcnt vmcnt(22)
	v_mul_f32_e32 v6, v9, v131
	ds_write_b64 v102, v[4:5] offset:6720
	v_mul_f32_e32 v4, v8, v131
	v_fmac_f32_e32 v6, v8, v130
	v_fma_f32 v7, v9, v130, -v4
	ds_write2_b64 v102, v[2:3], v[6:7] offset1:112
	s_waitcnt vmcnt(20)
	v_mul_f32_e32 v2, v12, v129
	v_fma_f32 v5, v13, v128, -v2
	s_waitcnt vmcnt(18)
	v_mul_f32_e32 v2, v14, v123
	v_mul_f32_e32 v4, v13, v129
	v_fma_f32 v7, v15, v122, -v2
	s_waitcnt vmcnt(16)
	v_mul_f32_e32 v8, v11, v125
	v_mul_f32_e32 v2, v10, v125
	v_fmac_f32_e32 v4, v12, v128
	v_fmac_f32_e32 v8, v10, v124
	v_fma_f32 v9, v11, v124, -v2
	v_add_u32_e32 v2, 0x1c00, v102
	v_mul_f32_e32 v6, v15, v123
	ds_write2_b64 v2, v[4:5], v[8:9] offset0:56 offset1:168
	s_waitcnt vmcnt(14)
	v_mul_f32_e32 v4, v19, v121
	v_mul_f32_e32 v3, v18, v121
	v_fmac_f32_e32 v6, v14, v122
	v_fmac_f32_e32 v4, v18, v120
	v_fma_f32 v5, v19, v120, -v3
	v_add_u32_e32 v3, 0x400, v102
	ds_write2_b64 v3, v[6:7], v[4:5] offset0:96 offset1:208
	s_waitcnt vmcnt(12)
	v_mul_f32_e32 v4, v21, v119
	v_mul_f32_e32 v5, v20, v119
	s_waitcnt vmcnt(8)
	v_mul_f32_e32 v10, v25, v113
	v_mul_f32_e32 v8, v24, v113
	v_fmac_f32_e32 v4, v20, v118
	v_fma_f32 v5, v21, v118, -v5
	v_fmac_f32_e32 v10, v24, v112
	v_fma_f32 v11, v25, v112, -v8
	v_add_u32_e32 v8, 0x2400, v102
	v_mul_f32_e32 v6, v23, v115
	v_mul_f32_e32 v7, v22, v115
	ds_write2_b64 v8, v[4:5], v[10:11] offset0:24 offset1:136
	s_waitcnt vmcnt(6)
	v_mul_f32_e32 v4, v27, v111
	v_mul_f32_e32 v5, v26, v111
	v_fmac_f32_e32 v6, v22, v114
	v_fma_f32 v7, v23, v114, -v7
	v_fmac_f32_e32 v4, v26, v110
	v_fma_f32 v5, v27, v110, -v5
	v_add_u32_e32 v9, 0xc00, v102
	ds_write2_b64 v9, v[6:7], v[4:5] offset0:64 offset1:176
	s_waitcnt vmcnt(2)
	v_mul_f32_e32 v6, v31, v107
	v_mul_f32_e32 v7, v30, v107
	v_fmac_f32_e32 v6, v30, v106
	v_fma_f32 v7, v31, v106, -v7
	v_mul_f32_e32 v4, v29, v109
	v_mul_f32_e32 v5, v28, v109
	ds_write_b64 v102, v[6:7] offset:5376
	s_waitcnt vmcnt(0)
	v_mul_f32_e32 v6, v33, v105
	v_mul_f32_e32 v7, v32, v105
	v_fmac_f32_e32 v4, v28, v108
	v_fma_f32 v5, v29, v108, -v5
	v_fmac_f32_e32 v6, v32, v104
	v_fma_f32 v7, v33, v104, -v7
	v_add_u32_e32 v28, 0x2800, v102
	ds_write2_b64 v28, v[4:5], v[6:7] offset0:120 offset1:232
	s_and_saveexec_b64 s[16:17], s[6:7]
	s_cbranch_execz .LBB0_3
; %bb.2:
	v_add_co_u32_e32 v6, vcc, 0x1000, v100
	v_lshl_add_u64 v[0:1], s[4:5], 3, v[0:1]
	s_nop 0
	v_addc_co_u32_e32 v7, vcc, 0, v101, vcc
	v_add_co_u32_e32 v10, vcc, 0x3000, v100
	global_load_dwordx2 v[4:5], v[0:1], off
	v_lshl_add_u64 v[0:1], s[2:3], 3, v[0:1]
	global_load_dwordx2 v[6:7], v[6:7], off offset:2176
	v_addc_co_u32_e32 v11, vcc, 0, v101, vcc
	global_load_dwordx2 v[10:11], v[10:11], off offset:704
	s_waitcnt vmcnt(1)
	v_mul_f32_e32 v12, v5, v7
	global_load_dwordx2 v[0:1], v[0:1], off
	v_mul_f32_e32 v7, v4, v7
	v_fmac_f32_e32 v12, v4, v6
	v_fma_f32 v13, v5, v6, -v7
	ds_write_b64 v102, v[12:13] offset:6272
	s_waitcnt vmcnt(0)
	v_mul_f32_e32 v4, v1, v11
	v_mul_f32_e32 v5, v0, v11
	v_fmac_f32_e32 v4, v0, v10
	v_fma_f32 v5, v1, v10, -v5
	ds_write_b64 v102, v[4:5] offset:12992
.LBB0_3:
	s_or_b64 exec, exec, s[16:17]
	v_add_u32_e32 v0, 0x1400, v102
	s_waitcnt lgkmcnt(0)
	s_barrier
	ds_read2_b64 v[16:19], v102 offset1:112
	ds_read2_b64 v[4:7], v0 offset0:32 offset1:200
	ds_read2_b64 v[24:27], v2 offset0:56 offset1:168
	;; [unrolled: 1-line block ×6, first 2 shown]
                                        ; implicit-def: $vgpr28
                                        ; implicit-def: $vgpr30
	s_and_saveexec_b64 s[2:3], s[6:7]
	s_cbranch_execz .LBB0_5
; %bb.4:
	ds_read_b64 v[28:29], v102 offset:6272
	ds_read_b64 v[30:31], v102 offset:12992
.LBB0_5:
	s_or_b64 exec, exec, s[2:3]
	s_mov_b64 s[2:3], 0x70
	v_lshl_add_u64 v[84:85], v[116:117], 0, s[2:3]
	s_mov_b64 s[2:3], 0xe0
	s_load_dwordx2 s[0:1], s[0:1], 0x8
	v_lshl_add_u64 v[86:87], v[116:117], 0, s[2:3]
	s_mov_b64 s[2:3], 0x150
	v_lshl_add_u64 v[34:35], v[116:117], 0, s[2:3]
	s_mov_b64 s[2:3], 0x1c0
	s_waitcnt lgkmcnt(0)
	v_pk_add_f32 v[40:41], v[16:17], v[6:7] neg_lo:[0,1] neg_hi:[0,1]
	v_pk_add_f32 v[24:25], v[18:19], v[24:25] neg_lo:[0,1] neg_hi:[0,1]
	v_lshl_add_u64 v[32:33], v[116:117], 0, s[2:3]
	s_mov_b64 s[2:3], 0x310
	v_pk_add_f32 v[26:27], v[12:13], v[26:27] neg_lo:[0,1] neg_hi:[0,1]
	v_pk_add_f32 v[20:21], v[14:15], v[20:21] neg_lo:[0,1] neg_hi:[0,1]
	;; [unrolled: 1-line block ×3, first 2 shown]
	v_lshlrev_b32_e32 v127, 4, v116
	v_pk_fma_f32 v[38:39], v[16:17], 2.0, v[40:41] op_sel_hi:[1,0,1] neg_lo:[0,0,1] neg_hi:[0,0,1]
	v_lshlrev_b32_e32 v148, 4, v84
	v_pk_fma_f32 v[22:23], v[18:19], 2.0, v[24:25] op_sel_hi:[1,0,1] neg_lo:[0,0,1] neg_hi:[0,0,1]
	v_lshlrev_b32_e32 v33, 1, v116
	v_lshl_add_u64 v[36:37], v[116:117], 0, s[2:3]
	v_pk_add_f32 v[44:45], v[10:11], v[0:1] neg_lo:[0,1] neg_hi:[0,1]
	v_pk_add_f32 v[6:7], v[4:5], v[2:3] neg_lo:[0,1] neg_hi:[0,1]
	;; [unrolled: 1-line block ×3, first 2 shown]
	s_barrier
	ds_write_b128 v127, v[38:41]
	ds_write_b128 v148, v[22:25]
	v_lshlrev_b32_e32 v149, 4, v86
	v_pk_fma_f32 v[24:25], v[12:13], 2.0, v[26:27] op_sel_hi:[1,0,1] neg_lo:[0,0,1] neg_hi:[0,0,1]
	v_lshlrev_b32_e32 v151, 4, v34
	v_pk_fma_f32 v[18:19], v[14:15], 2.0, v[20:21] op_sel_hi:[1,0,1] neg_lo:[0,0,1] neg_hi:[0,0,1]
	;; [unrolled: 2-line block ×3, first 2 shown]
	v_pk_fma_f32 v[0:1], v[28:29], 2.0, v[2:3] op_sel_hi:[1,0,1] neg_lo:[0,0,1] neg_hi:[0,0,1]
	v_lshlrev_b32_e32 v35, 1, v84
	v_lshlrev_b32_e32 v37, 1, v86
	ds_write_b128 v149, v[24:27]
	v_lshlrev_b32_e32 v38, 1, v34
	ds_write_b128 v151, v[18:21]
	;; [unrolled: 2-line block ×3, first 2 shown]
	v_add_u32_e32 v153, 0x460, v33
	v_pk_fma_f32 v[42:43], v[10:11], 2.0, v[44:45] op_sel_hi:[1,0,1] neg_lo:[0,0,1] neg_hi:[0,0,1]
	v_lshlrev_b32_e32 v8, 3, v33
	v_add_u32_e32 v164, 0x540, v33
	v_pk_fma_f32 v[4:5], v[4:5], 2.0, v[6:7] op_sel_hi:[1,0,1] neg_lo:[0,0,1] neg_hi:[0,0,1]
	v_lshlrev_b32_e32 v150, 4, v36
	ds_write_b128 v8, v[42:45] offset:8960
	ds_write_b128 v8, v[4:7] offset:10752
	s_and_saveexec_b64 s[2:3], s[6:7]
	s_cbranch_execz .LBB0_7
; %bb.6:
	ds_write_b128 v150, v[0:3]
.LBB0_7:
	s_or_b64 exec, exec, s[2:3]
	v_add_u32_e32 v12, 0x1c00, v102
	v_add_u32_e32 v16, 0x2400, v102
	s_waitcnt lgkmcnt(0)
	s_barrier
	v_add_u32_e32 v4, 0x1400, v102
	ds_read2_b64 v[20:23], v12 offset0:56 offset1:168
	v_add_u32_e32 v12, 0x400, v102
	ds_read2_b64 v[24:27], v16 offset0:24 offset1:136
	v_add_u32_e32 v16, 0xc00, v102
	v_add_u32_e32 v28, 0x2800, v102
	ds_read2_b64 v[8:11], v102 offset1:112
	ds_read2_b64 v[4:7], v4 offset0:32 offset1:200
	ds_read2_b64 v[12:15], v12 offset0:96 offset1:208
	;; [unrolled: 1-line block ×4, first 2 shown]
	s_and_saveexec_b64 s[2:3], s[6:7]
	s_cbranch_execz .LBB0_9
; %bb.8:
	ds_read_b64 v[0:1], v102 offset:6272
	ds_read_b64 v[2:3], v102 offset:12992
.LBB0_9:
	s_or_b64 exec, exec, s[2:3]
	v_and_b32_e32 v117, 1, v116
	v_lshlrev_b32_e32 v40, 3, v117
	global_load_dwordx2 v[136:137], v40, s[0:1]
	s_movk_i32 s2, 0xfc
	s_movk_i32 s3, 0x1fc
	;; [unrolled: 1-line block ×5, first 2 shown]
	v_and_or_b32 v40, v33, s2, v117
	v_and_or_b32 v41, v35, s3, v117
	v_and_or_b32 v42, v37, s4, v117
	v_and_or_b32 v43, v38, s4, v117
	v_and_or_b32 v44, v39, s5, v117
	v_and_or_b32 v45, v153, s16, v117
	v_and_or_b32 v46, v164, s5, v117
	v_lshlrev_b32_e32 v161, 3, v40
	v_lshlrev_b32_e32 v160, 3, v41
	;; [unrolled: 1-line block ×8, first 2 shown]
	s_waitcnt lgkmcnt(0)
	s_barrier
	s_waitcnt vmcnt(0)
	v_pk_mul_f32 v[40:41], v[2:3], v[136:137] op_sel:[1,0]
	v_pk_mul_f32 v[42:43], v[6:7], v[136:137] op_sel:[0,1]
	;; [unrolled: 1-line block ×8, first 2 shown]
	v_pk_fma_f32 v[56:57], v[2:3], v[136:137], v[40:41] op_sel:[0,0,1] op_sel_hi:[1,1,0] neg_lo:[0,0,1] neg_hi:[0,0,1]
	v_pk_fma_f32 v[2:3], v[2:3], v[136:137], v[40:41] op_sel:[0,0,1] op_sel_hi:[0,1,0]
	v_pk_fma_f32 v[40:41], v[6:7], v[136:137], v[42:43] op_sel:[0,0,1] op_sel_hi:[1,1,0] neg_lo:[0,0,1] neg_hi:[0,0,1]
	v_pk_fma_f32 v[6:7], v[6:7], v[136:137], v[42:43] op_sel:[0,0,1] op_sel_hi:[1,0,0]
	;; [unrolled: 2-line block ×8, first 2 shown]
	v_mov_b32_e32 v57, v3
	v_mov_b32_e32 v41, v7
	;; [unrolled: 1-line block ×8, first 2 shown]
	v_pk_add_f32 v[30:31], v[0:1], v[56:57] neg_lo:[0,1] neg_hi:[0,1]
	v_pk_add_f32 v[2:3], v[8:9], v[40:41] neg_lo:[0,1] neg_hi:[0,1]
	;; [unrolled: 1-line block ×8, first 2 shown]
	v_pk_fma_f32 v[28:29], v[0:1], 2.0, v[30:31] op_sel_hi:[1,0,1] neg_lo:[0,0,1] neg_hi:[0,0,1]
	v_pk_fma_f32 v[0:1], v[8:9], 2.0, v[2:3] op_sel_hi:[1,0,1] neg_lo:[0,0,1] neg_hi:[0,0,1]
	;; [unrolled: 1-line block ×8, first 2 shown]
	ds_write2_b64 v161, v[0:1], v[2:3] offset1:2
	ds_write2_b64 v160, v[8:9], v[6:7] offset1:2
	;; [unrolled: 1-line block ×7, first 2 shown]
	s_and_saveexec_b64 s[2:3], s[6:7]
	s_cbranch_execz .LBB0_11
; %bb.10:
	s_movk_i32 s4, 0x6fc
	v_and_or_b32 v0, v103, s4, v117
	v_lshlrev_b32_e32 v0, 3, v0
	ds_write2_b64 v0, v[28:29], v[30:31] offset1:2
.LBB0_11:
	s_or_b64 exec, exec, s[2:3]
	v_add_u32_e32 v8, 0x1c00, v102
	v_add_u32_e32 v12, 0x2400, v102
	s_waitcnt lgkmcnt(0)
	s_barrier
	v_add_u32_e32 v0, 0x1400, v102
	ds_read2_b64 v[16:19], v8 offset0:56 offset1:168
	v_add_u32_e32 v8, 0x400, v102
	ds_read2_b64 v[20:23], v12 offset0:24 offset1:136
	v_add_u32_e32 v12, 0xc00, v102
	v_add_u32_e32 v24, 0x2800, v102
	ds_read2_b64 v[4:7], v102 offset1:112
	ds_read2_b64 v[0:3], v0 offset0:32 offset1:200
	ds_read2_b64 v[8:11], v8 offset0:96 offset1:208
	;; [unrolled: 1-line block ×4, first 2 shown]
	s_and_saveexec_b64 s[2:3], s[6:7]
	s_cbranch_execz .LBB0_13
; %bb.12:
	ds_read_b64 v[28:29], v102 offset:6272
	ds_read_b64 v[30:31], v102 offset:12992
.LBB0_13:
	s_or_b64 exec, exec, s[2:3]
	v_and_b32_e32 v154, 3, v116
	v_lshlrev_b32_e32 v36, 3, v154
	global_load_dwordx2 v[138:139], v36, s[0:1] offset:16
	s_movk_i32 s3, 0x1f8
	s_movk_i32 s4, 0x3f8
	s_movk_i32 s5, 0x7f8
	s_movk_i32 s16, 0x5f8
	v_and_or_b32 v40, v35, s3, v154
	v_and_or_b32 v41, v37, s4, v154
	;; [unrolled: 1-line block ×6, first 2 shown]
	v_lshlrev_b32_e32 v169, 3, v40
	v_lshlrev_b32_e32 v168, 3, v41
	;; [unrolled: 1-line block ×6, first 2 shown]
	s_movk_i32 s2, 0xf8
	v_and_or_b32 v36, v33, s2, v154
	v_lshlrev_b32_e32 v170, 3, v36
	s_waitcnt lgkmcnt(0)
	s_barrier
	s_waitcnt vmcnt(0)
	v_pk_mul_f32 v[40:41], v[30:31], v[138:139] op_sel:[1,0]
	v_pk_mul_f32 v[42:43], v[2:3], v[138:139] op_sel:[0,1]
	;; [unrolled: 1-line block ×8, first 2 shown]
	v_pk_fma_f32 v[56:57], v[30:31], v[138:139], v[40:41] op_sel:[0,0,1] op_sel_hi:[1,1,0] neg_lo:[0,0,1] neg_hi:[0,0,1]
	v_pk_fma_f32 v[30:31], v[30:31], v[138:139], v[40:41] op_sel:[0,0,1] op_sel_hi:[0,1,0]
	v_pk_fma_f32 v[40:41], v[2:3], v[138:139], v[42:43] op_sel:[0,0,1] op_sel_hi:[1,1,0] neg_lo:[0,0,1] neg_hi:[0,0,1]
	v_pk_fma_f32 v[2:3], v[2:3], v[138:139], v[42:43] op_sel:[0,0,1] op_sel_hi:[1,0,0]
	;; [unrolled: 2-line block ×8, first 2 shown]
	v_mov_b32_e32 v57, v31
	v_mov_b32_e32 v41, v3
	;; [unrolled: 1-line block ×8, first 2 shown]
	v_pk_add_f32 v[30:31], v[28:29], v[56:57] neg_lo:[0,1] neg_hi:[0,1]
	v_pk_add_f32 v[2:3], v[4:5], v[40:41] neg_lo:[0,1] neg_hi:[0,1]
	;; [unrolled: 1-line block ×8, first 2 shown]
	v_pk_fma_f32 v[28:29], v[28:29], 2.0, v[30:31] op_sel_hi:[1,0,1] neg_lo:[0,0,1] neg_hi:[0,0,1]
	v_pk_fma_f32 v[4:5], v[4:5], 2.0, v[2:3] op_sel_hi:[1,0,1] neg_lo:[0,0,1] neg_hi:[0,0,1]
	;; [unrolled: 1-line block ×8, first 2 shown]
	ds_write2_b64 v170, v[4:5], v[2:3] offset1:4
	ds_write2_b64 v169, v[6:7], v[16:17] offset1:4
	ds_write2_b64 v168, v[8:9], v[18:19] offset1:4
	ds_write2_b64 v167, v[10:11], v[20:21] offset1:4
	ds_write2_b64 v166, v[12:13], v[22:23] offset1:4
	ds_write2_b64 v165, v[14:15], v[24:25] offset1:4
	ds_write2_b64 v163, v[0:1], v[26:27] offset1:4
	s_and_saveexec_b64 s[2:3], s[6:7]
	s_cbranch_execz .LBB0_15
; %bb.14:
	s_movk_i32 s4, 0x6f8
	v_and_or_b32 v0, v103, s4, v154
	v_lshlrev_b32_e32 v0, 3, v0
	ds_write2_b64 v0, v[28:29], v[30:31] offset1:4
.LBB0_15:
	s_or_b64 exec, exec, s[2:3]
	v_add_u32_e32 v8, 0x1c00, v102
	v_add_u32_e32 v12, 0x2400, v102
	s_waitcnt lgkmcnt(0)
	s_barrier
	v_add_u32_e32 v0, 0x1400, v102
	ds_read2_b64 v[16:19], v8 offset0:56 offset1:168
	v_add_u32_e32 v8, 0x400, v102
	ds_read2_b64 v[20:23], v12 offset0:24 offset1:136
	v_add_u32_e32 v12, 0xc00, v102
	v_add_u32_e32 v24, 0x2800, v102
	ds_read2_b64 v[4:7], v102 offset1:112
	ds_read2_b64 v[0:3], v0 offset0:32 offset1:200
	ds_read2_b64 v[8:11], v8 offset0:96 offset1:208
	;; [unrolled: 1-line block ×4, first 2 shown]
	s_and_saveexec_b64 s[2:3], s[6:7]
	s_cbranch_execz .LBB0_17
; %bb.16:
	ds_read_b64 v[28:29], v102 offset:6272
	ds_read_b64 v[30:31], v102 offset:12992
.LBB0_17:
	s_or_b64 exec, exec, s[2:3]
	v_and_b32_e32 v162, 7, v116
	v_lshlrev_b32_e32 v36, 3, v162
	global_load_dwordx2 v[144:145], v36, s[0:1] offset:48
	s_movk_i32 s4, 0x3f0
	s_movk_i32 s5, 0x7f0
	;; [unrolled: 1-line block ×3, first 2 shown]
	v_and_or_b32 v36, v37, s4, v162
	v_and_or_b32 v37, v38, s4, v162
	;; [unrolled: 1-line block ×5, first 2 shown]
	v_lshlrev_b32_e32 v177, 3, v36
	v_lshlrev_b32_e32 v175, 3, v37
	;; [unrolled: 1-line block ×5, first 2 shown]
	s_movk_i32 s2, 0xf0
	s_movk_i32 s3, 0x1f0
	v_and_or_b32 v33, v33, s2, v162
	v_and_or_b32 v35, v35, s3, v162
	v_lshlrev_b32_e32 v180, 3, v33
	v_lshlrev_b32_e32 v179, 3, v35
	s_waitcnt lgkmcnt(0)
	s_barrier
	s_waitcnt vmcnt(0)
	v_pk_mul_f32 v[36:37], v[30:31], v[144:145] op_sel:[1,0]
	v_pk_mul_f32 v[38:39], v[2:3], v[144:145] op_sel:[0,1]
	;; [unrolled: 1-line block ×8, first 2 shown]
	v_pk_fma_f32 v[52:53], v[30:31], v[144:145], v[36:37] op_sel:[0,0,1] op_sel_hi:[1,1,0] neg_lo:[0,0,1] neg_hi:[0,0,1]
	v_pk_fma_f32 v[30:31], v[30:31], v[144:145], v[36:37] op_sel:[0,0,1] op_sel_hi:[0,1,0]
	v_pk_fma_f32 v[36:37], v[2:3], v[144:145], v[38:39] op_sel:[0,0,1] op_sel_hi:[1,1,0] neg_lo:[0,0,1] neg_hi:[0,0,1]
	v_pk_fma_f32 v[2:3], v[2:3], v[144:145], v[38:39] op_sel:[0,0,1] op_sel_hi:[1,0,0]
	;; [unrolled: 2-line block ×8, first 2 shown]
	v_mov_b32_e32 v37, v3
	v_mov_b32_e32 v53, v31
	;; [unrolled: 1-line block ×8, first 2 shown]
	v_pk_add_f32 v[2:3], v[4:5], v[36:37] neg_lo:[0,1] neg_hi:[0,1]
	v_pk_add_f32 v[50:51], v[28:29], v[52:53] neg_lo:[0,1] neg_hi:[0,1]
	;; [unrolled: 1-line block ×8, first 2 shown]
	v_pk_fma_f32 v[4:5], v[4:5], 2.0, v[2:3] op_sel_hi:[1,0,1] neg_lo:[0,0,1] neg_hi:[0,0,1]
	v_pk_fma_f32 v[6:7], v[6:7], 2.0, v[16:17] op_sel_hi:[1,0,1] neg_lo:[0,0,1] neg_hi:[0,0,1]
	;; [unrolled: 1-line block ×7, first 2 shown]
	ds_write2_b64 v180, v[4:5], v[2:3] offset1:8
	ds_write2_b64 v179, v[6:7], v[16:17] offset1:8
	;; [unrolled: 1-line block ×7, first 2 shown]
	s_and_saveexec_b64 s[2:3], s[6:7]
	s_cbranch_execz .LBB0_19
; %bb.18:
	s_movk_i32 s4, 0x6f0
	v_and_or_b32 v0, v103, s4, v162
	v_lshlrev_b32_e32 v2, 3, v0
	v_pk_fma_f32 v[0:1], v[28:29], 2.0, v[50:51] op_sel_hi:[1,0,1] neg_lo:[0,0,1] neg_hi:[0,0,1]
	ds_write2_b64 v2, v[0:1], v[50:51] offset1:8
.LBB0_19:
	s_or_b64 exec, exec, s[2:3]
	v_and_b32_e32 v33, 15, v116
	v_lshlrev_b32_e32 v0, 4, v33
	s_waitcnt lgkmcnt(0)
	s_barrier
	global_load_dwordx4 v[22:25], v0, s[0:1] offset:112
	v_add_u32_e32 v4, 0x1800, v102
	ds_read_b64 v[20:21], v102 offset:12544
	v_add_u32_e32 v60, 0xc00, v102
	v_lshrrev_b32_e32 v12, 4, v116
	v_lshrrev_b32_e32 v13, 4, v84
	;; [unrolled: 1-line block ×4, first 2 shown]
	v_add_u32_e32 v72, 0x400, v102
	v_add_u32_e32 v16, 0x2800, v102
	ds_read2_b64 v[0:3], v102 offset1:112
	ds_read2_b64 v[4:7], v4 offset0:128 offset1:240
	ds_read2_b64 v[8:11], v60 offset0:64 offset1:176
	v_add_u32_e32 v61, 0x1400, v102
	v_add_u32_e32 v30, 0x2000, v102
	v_mul_u32_u24_e32 v31, 48, v12
	v_mul_u32_u24_e32 v38, 48, v13
	;; [unrolled: 1-line block ×4, first 2 shown]
	ds_read2_b64 v[12:15], v72 offset0:96 offset1:208
	ds_read2_b64 v[16:19], v16 offset0:64 offset1:176
	;; [unrolled: 1-line block ×4, first 2 shown]
	v_or_b32_e32 v30, v31, v33
	v_or_b32_e32 v31, v38, v33
	;; [unrolled: 1-line block ×4, first 2 shown]
	v_lshlrev_b32_e32 v181, 3, v30
	v_lshlrev_b32_e32 v178, 3, v31
	;; [unrolled: 1-line block ×3, first 2 shown]
	s_mov_b32 s2, 0x3f5db3d7
	v_lshlrev_b32_e32 v173, 3, v39
	s_waitcnt lgkmcnt(0)
	s_barrier
	v_cmp_lt_u16_e64 s[4:5], 15, v116
                                        ; implicit-def: $vgpr78
                                        ; implicit-def: $vgpr82
                                        ; implicit-def: $vgpr90
                                        ; implicit-def: $vgpr92
                                        ; implicit-def: $vgpr94
                                        ; implicit-def: $vgpr96
	s_waitcnt vmcnt(0)
	v_pk_mul_f32 v[30:31], v[6:7], v[22:23] op_sel:[0,1]
	v_mov_b32_e32 v38, v25
	v_pk_mul_f32 v[44:45], v[26:27], v[22:23] op_sel:[0,1]
	v_pk_mul_f32 v[46:47], v[10:11], v[22:23] op_sel:[0,1]
	v_pk_fma_f32 v[48:49], v[6:7], v[22:23], v[30:31] op_sel:[1,0,0] op_sel_hi:[0,1,1]
	v_pk_fma_f32 v[6:7], v[6:7], v[22:23], v[30:31] op_sel:[1,0,0] op_sel_hi:[0,0,1] neg_lo:[0,0,1] neg_hi:[0,0,1]
	v_pk_mul_f32 v[30:31], v[20:21], v[38:39] op_sel_hi:[1,0]
	v_pk_fma_f32 v[56:57], v[26:27], v[22:23], v[44:45] op_sel:[0,0,1] op_sel_hi:[1,1,0] neg_lo:[0,0,1] neg_hi:[0,0,1]
	v_pk_fma_f32 v[26:27], v[26:27], v[22:23], v[44:45] op_sel:[0,0,1] op_sel_hi:[1,0,0]
	v_pk_mul_f32 v[44:45], v[36:37], v[38:39] op_sel_hi:[1,0]
	v_pk_fma_f32 v[58:59], v[10:11], v[22:23], v[46:47] op_sel:[0,0,1] op_sel_hi:[1,1,0] neg_lo:[0,0,1] neg_hi:[0,0,1]
	v_pk_fma_f32 v[10:11], v[10:11], v[22:23], v[46:47] op_sel:[0,0,1] op_sel_hi:[1,0,0]
	v_pk_fma_f32 v[46:47], v[20:21], v[24:25], v[30:31] op_sel:[1,0,0] op_sel_hi:[0,1,1]
	v_pk_fma_f32 v[20:21], v[20:21], v[24:25], v[30:31] op_sel:[1,0,0] op_sel_hi:[0,0,1] neg_lo:[0,0,1] neg_hi:[0,0,1]
	v_mov_b32_e32 v49, v7
	v_mov_b32_e32 v6, v7
	;; [unrolled: 1-line block ×4, first 2 shown]
	v_pk_fma_f32 v[30:31], v[36:37], v[24:25], v[44:45] op_sel:[0,0,1] op_sel_hi:[1,1,0] neg_lo:[0,0,1] neg_hi:[0,0,1]
	v_pk_fma_f32 v[26:27], v[36:37], v[24:25], v[44:45] op_sel:[0,0,1] op_sel_hi:[1,0,0]
	v_mov_b32_e32 v59, v11
	v_mov_b32_e32 v10, v21
	;; [unrolled: 1-line block ×5, first 2 shown]
	v_pk_add_f32 v[26:27], v[6:7], v[10:11]
	v_pk_add_f32 v[36:37], v[48:49], v[46:47] neg_lo:[0,1] neg_hi:[0,1]
	v_pk_fma_f32 v[26:27], v[26:27], 0.5, v[8:9] op_sel_hi:[1,0,1] neg_lo:[1,0,0] neg_hi:[1,0,0]
	v_pk_mul_f32 v[40:41], v[4:5], v[22:23] op_sel:[0,1]
	v_pk_mul_f32 v[42:43], v[28:29], v[22:23] op_sel:[0,1]
	v_pk_fma_f32 v[48:49], v[36:37], s[2:3], v[26:27] op_sel_hi:[1,0,1] neg_lo:[1,0,0] neg_hi:[1,0,0]
	v_pk_fma_f32 v[26:27], v[36:37], s[2:3], v[26:27] op_sel_hi:[1,0,1]
	v_pk_mul_f32 v[36:37], v[34:35], v[38:39] op_sel_hi:[1,0]
	v_pk_fma_f32 v[52:53], v[4:5], v[22:23], v[40:41] op_sel:[0,0,1] op_sel_hi:[1,1,0] neg_lo:[0,0,1] neg_hi:[0,0,1]
	v_pk_fma_f32 v[4:5], v[4:5], v[22:23], v[40:41] op_sel:[0,0,1] op_sel_hi:[1,0,0]
	v_pk_mul_f32 v[40:41], v[18:19], v[38:39] op_sel_hi:[1,0]
	v_pk_fma_f32 v[54:55], v[28:29], v[22:23], v[42:43] op_sel:[0,0,1] op_sel_hi:[1,1,0] neg_lo:[0,0,1] neg_hi:[0,0,1]
	v_pk_fma_f32 v[28:29], v[28:29], v[22:23], v[42:43] op_sel:[0,0,1] op_sel_hi:[1,0,0]
	;; [unrolled: 3-line block ×3, first 2 shown]
	v_pk_add_f32 v[20:21], v[2:3], v[56:57]
	v_mov_b32_e32 v39, v35
	v_pk_add_f32 v[36:37], v[58:59], v[38:39]
	v_pk_add_f32 v[34:35], v[0:1], v[58:59]
	v_pk_fma_f32 v[0:1], v[36:37], 0.5, v[0:1] op_sel_hi:[1,0,1] neg_lo:[1,0,0] neg_hi:[1,0,0]
	v_pk_add_f32 v[36:37], v[58:59], v[38:39] neg_lo:[0,1] neg_hi:[0,1]
	v_pk_add_f32 v[34:35], v[34:35], v[38:39]
	v_pk_mul_f32 v[36:37], v[36:37], s[2:3] op_sel_hi:[1,0]
	v_mov_b32_e32 v55, v29
	v_pk_add_f32 v[38:39], v[0:1], v[36:37] op_sel:[0,1] op_sel_hi:[1,0]
	v_pk_add_f32 v[0:1], v[0:1], v[36:37] op_sel:[0,1] op_sel_hi:[1,0] neg_lo:[0,1] neg_hi:[0,1]
	v_pk_fma_f32 v[28:29], v[16:17], v[24:25], v[42:43] op_sel:[0,0,1] op_sel_hi:[1,1,0] neg_lo:[0,0,1] neg_hi:[0,0,1]
	v_mov_b32_e32 v37, v1
	v_mov_b32_e32 v1, v39
	ds_write_b64 v181, v[0:1] offset:256
	v_pk_add_f32 v[0:1], v[56:57], v[30:31]
	v_pk_fma_f32 v[16:17], v[16:17], v[24:25], v[42:43] op_sel:[0,0,1] op_sel_hi:[1,0,0]
	v_pk_fma_f32 v[0:1], v[0:1], 0.5, v[2:3] op_sel_hi:[1,0,1] neg_lo:[1,0,0] neg_hi:[1,0,0]
	v_pk_add_f32 v[2:3], v[56:57], v[30:31] neg_lo:[0,1] neg_hi:[0,1]
	v_pk_add_f32 v[20:21], v[20:21], v[30:31]
	v_pk_mul_f32 v[2:3], v[2:3], s[2:3] op_sel_hi:[1,0]
	v_mov_b32_e32 v29, v17
	v_pk_add_f32 v[30:31], v[0:1], v[2:3] op_sel:[0,1] op_sel_hi:[1,0]
	v_pk_add_f32 v[0:1], v[0:1], v[2:3] op_sel:[0,1] op_sel_hi:[1,0] neg_lo:[0,1] neg_hi:[0,1]
	v_mov_b32_e32 v36, v38
	v_mov_b32_e32 v2, v30
	;; [unrolled: 1-line block ×4, first 2 shown]
	ds_write2_b64 v181, v[34:35], v[36:37] offset1:16
	ds_write2_b64 v178, v[20:21], v[2:3] offset1:16
	ds_write_b64 v178, v[0:1] offset:256
	v_pk_add_f32 v[0:1], v[54:55], v[28:29]
	v_pk_add_f32 v[2:3], v[54:55], v[28:29] neg_lo:[0,1] neg_hi:[0,1]
	v_pk_fma_f32 v[0:1], v[0:1], 0.5, v[12:13] op_sel_hi:[1,0,1] neg_lo:[1,0,0] neg_hi:[1,0,0]
	v_pk_mul_f32 v[2:3], v[2:3], s[2:3] op_sel_hi:[1,0]
	v_mov_b32_e32 v53, v5
	v_pk_fma_f32 v[4:5], v[18:19], v[24:25], v[40:41] op_sel:[0,0,1] op_sel_hi:[1,1,0] neg_lo:[0,0,1] neg_hi:[0,0,1]
	v_pk_fma_f32 v[18:19], v[18:19], v[24:25], v[40:41] op_sel:[0,0,1] op_sel_hi:[1,0,0]
	v_pk_add_f32 v[16:17], v[12:13], v[54:55]
	v_pk_add_f32 v[12:13], v[0:1], v[2:3] op_sel:[0,1] op_sel_hi:[1,0]
	v_pk_add_f32 v[0:1], v[0:1], v[2:3] op_sel:[0,1] op_sel_hi:[1,0] neg_lo:[0,1] neg_hi:[0,1]
	v_mov_b32_e32 v5, v19
	v_pk_add_f32 v[16:17], v[16:17], v[28:29]
	v_mov_b32_e32 v2, v12
	v_mov_b32_e32 v3, v1
	;; [unrolled: 1-line block ×3, first 2 shown]
	ds_write2_b64 v176, v[16:17], v[2:3] offset1:16
	ds_write_b64 v176, v[0:1] offset:256
	v_pk_add_f32 v[0:1], v[52:53], v[4:5]
	v_pk_add_f32 v[2:3], v[52:53], v[4:5] neg_lo:[0,1] neg_hi:[0,1]
	v_pk_add_f32 v[18:19], v[14:15], v[52:53]
	v_pk_fma_f32 v[0:1], v[0:1], 0.5, v[14:15] op_sel_hi:[1,0,1] neg_lo:[1,0,0] neg_hi:[1,0,0]
	v_pk_mul_f32 v[2:3], v[2:3], s[2:3] op_sel_hi:[1,0]
	v_pk_add_f32 v[18:19], v[18:19], v[4:5]
	v_pk_add_f32 v[4:5], v[0:1], v[2:3] op_sel:[0,1] op_sel_hi:[1,0]
	v_pk_add_f32 v[0:1], v[0:1], v[2:3] op_sel:[0,1] op_sel_hi:[1,0] neg_lo:[0,1] neg_hi:[0,1]
	v_mov_b32_e32 v2, v4
	v_mov_b32_e32 v3, v1
	;; [unrolled: 1-line block ×3, first 2 shown]
	ds_write_b64 v173, v[0:1] offset:256
	v_lshrrev_b32_e32 v0, 4, v32
	v_mul_u32_u24_e32 v0, 48, v0
	v_or_b32_e32 v0, v0, v33
	v_lshlrev_b32_e32 v183, 3, v0
	v_pk_add_f32 v[0:1], v[8:9], v[6:7]
	ds_write2_b64 v173, v[18:19], v[2:3] offset1:16
	v_pk_add_f32 v[0:1], v[0:1], v[10:11]
	v_mov_b32_e32 v2, v26
	v_mov_b32_e32 v3, v49
	ds_write2_b64 v183, v[0:1], v[2:3] offset1:16
	v_mov_b32_e32 v49, v27
	v_add_u32_e32 v0, 0x1c00, v102
	ds_write_b64 v183, v[48:49] offset:256
	s_waitcnt lgkmcnt(0)
	s_barrier
	ds_read2_b64 v[44:47], v102 offset1:112
	ds_read2_b64 v[64:67], v60 offset0:96 offset1:208
	ds_read2_b64 v[52:55], v61 offset0:80 offset1:192
	;; [unrolled: 1-line block ×3, first 2 shown]
	v_add_u32_e32 v0, 0x2400, v102
	ds_read2_b64 v[60:63], v0 offset0:48 offset1:160
	ds_read2_b64 v[72:75], v72 offset0:112 offset1:224
	v_add_u32_e32 v0, 0x2c00, v102
	ds_read2_b64 v[56:59], v0 offset0:32 offset1:144
	v_cmp_gt_u16_e64 s[2:3], 16, v116
                                        ; implicit-def: $vgpr26
                                        ; implicit-def: $vgpr20
	s_and_saveexec_b64 s[16:17], s[2:3]
	s_cbranch_execz .LBB0_21
; %bb.20:
	v_add_u32_e32 v0, 0x700, v102
	ds_read2_b64 v[48:51], v0 offset1:240
	v_add_u32_e32 v0, 0x1600, v102
	ds_read2_b64 v[76:79], v0 offset1:240
	;; [unrolled: 2-line block ×3, first 2 shown]
	ds_read_b64 v[20:21], v102 offset:13312
	s_waitcnt lgkmcnt(3)
	v_mov_b32_e32 v27, v49
	s_waitcnt lgkmcnt(2)
	v_mov_b32_e32 v26, v79
	;; [unrolled: 2-line block ×4, first 2 shown]
	v_mov_b32_e32 v94, v81
	v_mov_b32_e32 v96, v77
.LBB0_21:
	s_or_b64 exec, exec, s[16:17]
	s_movk_i32 s18, 0xab
	v_mul_lo_u16_sdwa v0, v116, s18 dst_sel:DWORD dst_unused:UNUSED_PAD src0_sel:BYTE_0 src1_sel:DWORD
	v_mul_lo_u16_sdwa v2, v84, s18 dst_sel:DWORD dst_unused:UNUSED_PAD src0_sel:BYTE_0 src1_sel:DWORD
	v_lshrrev_b16_e32 v85, 13, v0
	v_lshrrev_b16_e32 v182, 13, v2
	v_mul_lo_u16_e32 v0, 48, v85
	v_mul_lo_u16_e32 v2, 48, v182
	v_sub_u16_e32 v0, v116, v0
	v_sub_u16_e32 v2, v84, v2
	v_and_b32_e32 v87, 0xff, v0
	v_and_b32_e32 v196, 0xff, v2
	v_mad_u64_u32 v[0:1], s[16:17], v87, 48, s[0:1]
	v_mad_u64_u32 v[2:3], s[16:17], v196, 48, s[0:1]
	s_mov_b32 s16, 0xaaab
	global_load_dwordx4 v[36:39], v[0:1], off offset:384
	global_load_dwordx4 v[28:31], v[0:1], off offset:368
	;; [unrolled: 1-line block ×6, first 2 shown]
	v_mul_u32_u24_sdwa v0, v86, s16 dst_sel:DWORD dst_unused:UNUSED_PAD src0_sel:WORD_0 src1_sel:DWORD
	v_lshrrev_b32_e32 v0, 21, v0
	v_mul_lo_u16_e32 v0, 48, v0
	v_sub_u16_e32 v197, v86, v0
	v_mul_lo_u16_e32 v88, 48, v197
	v_mov_b32_e32 v89, 0
	v_lshl_add_u64 v[8:9], s[0:1], 0, v[88:89]
	global_load_dwordx4 v[4:7], v[8:9], off offset:368
	global_load_dwordx4 v[0:3], v[8:9], off offset:384
	s_nop 0
	global_load_dwordx4 v[8:11], v[8:9], off offset:400
	v_mov_b32_e32 v49, v27
	s_mov_b32 s28, 0x3d64c772
	s_mov_b32 s20, 0x3f4a47b2
	;; [unrolled: 1-line block ×8, first 2 shown]
	s_waitcnt lgkmcnt(0)
	s_barrier
	s_waitcnt vmcnt(6)
	v_mul_f32_e32 v187, v63, v13
	s_waitcnt vmcnt(5)
	v_mul_f32_e32 v93, v55, v40
	v_mul_f32_e32 v91, v54, v41
	;; [unrolled: 1-line block ×6, first 2 shown]
	s_waitcnt vmcnt(3)
	v_mul_f32_e32 v186, v67, v19
	v_mul_f32_e32 v81, v69, v38
	s_waitcnt vmcnt(2)
	v_pk_mul_f32 v[140:141], v[50:51], v[4:5] op_sel:[1,0]
	v_pk_mul_f32 v[96:97], v[96:97], v[6:7] op_sel_hi:[0,1]
	s_waitcnt vmcnt(0)
	v_pk_mul_f32 v[146:147], v[90:91], v[8:9] op_sel_hi:[0,1]
	v_pk_mul_f32 v[184:185], v[92:93], v[10:11] op_sel_hi:[0,1]
	v_mul_f32_e32 v79, v70, v43
	v_pk_mul_f32 v[26:27], v[26:27], v[0:1] op_sel_hi:[0,1]
	v_pk_mul_f32 v[142:143], v[94:95], v[2:3] op_sel_hi:[0,1]
	v_fma_f32 v94, v64, v30, -v21
	v_fma_f32 v92, v66, v18, -v186
	;; [unrolled: 1-line block ×3, first 2 shown]
	v_pk_fma_f32 v[186:187], v[50:51], v[4:5], v[140:141] op_sel:[0,0,1] op_sel_hi:[1,1,0] neg_lo:[0,0,1] neg_hi:[0,0,1]
	v_pk_fma_f32 v[50:51], v[50:51], v[4:5], v[140:141] op_sel:[0,0,1] op_sel_hi:[0,1,0]
	v_pk_fma_f32 v[140:141], v[76:77], v[6:7], v[96:97] op_sel:[0,0,1] op_sel_hi:[1,1,0] neg_lo:[0,0,1] neg_hi:[0,0,1]
	v_pk_fma_f32 v[96:97], v[76:77], v[6:7], v[96:97] op_sel:[0,0,1] op_sel_hi:[0,1,0]
	;; [unrolled: 2-line block ×6, first 2 shown]
	v_mov_b32_e32 v187, v51
	v_mov_b32_e32 v141, v97
	;; [unrolled: 1-line block ×6, first 2 shown]
	v_pk_add_f32 v[20:21], v[186:187], v[194:195]
	v_pk_add_f32 v[50:51], v[140:141], v[192:193]
	v_pk_add_f32 v[96:97], v[140:141], v[192:193] neg_lo:[0,1] neg_hi:[0,1]
	v_pk_add_f32 v[140:141], v[188:189], v[190:191]
	v_pk_add_f32 v[146:147], v[50:51], v[20:21]
	v_pk_add_f32 v[26:27], v[186:187], v[194:195] neg_lo:[0,1] neg_hi:[0,1]
	v_pk_add_f32 v[142:143], v[190:191], v[188:189] neg_lo:[0,1] neg_hi:[0,1]
	;; [unrolled: 1-line block ×3, first 2 shown]
	v_mov_b32_e32 v193, v141
	v_mov_b32_e32 v192, v146
	v_mov_b32_e32 v146, v140
	v_pk_add_f32 v[50:51], v[140:141], v[50:51] neg_lo:[0,1] neg_hi:[0,1]
	v_pk_add_f32 v[20:21], v[20:21], v[140:141] neg_lo:[0,1] neg_hi:[0,1]
	v_pk_add_f32 v[186:187], v[142:143], v[96:97] op_sel:[1,1] op_sel_hi:[0,0]
	v_pk_add_f32 v[190:191], v[96:97], v[26:27] op_sel:[1,1] op_sel_hi:[0,0] neg_lo:[0,1] neg_hi:[0,1]
	v_pk_add_f32 v[146:147], v[192:193], v[146:147]
	v_pk_mul_f32 v[50:51], v[50:51], s[28:29] op_sel_hi:[1,0]
	v_pk_add_f32 v[96:97], v[142:143], v[96:97] op_sel:[1,1] op_sel_hi:[0,0] neg_lo:[0,1] neg_hi:[0,1]
	v_pk_add_f32 v[188:189], v[26:27], v[142:143] op_sel:[1,1] op_sel_hi:[0,0] neg_lo:[0,1] neg_hi:[0,1]
	v_pk_add_f32 v[26:27], v[186:187], v[26:27] op_sel:[0,1] op_sel_hi:[1,0]
	v_pk_mul_f32 v[186:187], v[20:21], s[20:21] op_sel_hi:[1,0]
	v_pk_add_f32 v[48:49], v[48:49], v[146:147]
	v_pk_fma_f32 v[20:21], v[20:21], s[20:21], v[50:51] op_sel_hi:[1,0,1]
	v_pk_fma_f32 v[50:51], v[184:185], s[16:17], v[50:51] op_sel_hi:[1,0,1] neg_lo:[0,0,1] neg_hi:[0,0,1]
	v_pk_mul_f32 v[96:97], v[96:97], s[30:31] op_sel_hi:[1,0]
	v_pk_mul_f32 v[192:193], v[26:27], s[22:23] op_sel_hi:[1,0]
	v_pk_fma_f32 v[146:147], v[146:147], s[18:19], v[48:49] op_sel_hi:[1,0,1] neg_lo:[1,0,0] neg_hi:[1,0,0]
	v_mov_b32_e32 v140, v21
	v_mov_b32_e32 v141, v50
	v_pk_fma_f32 v[184:185], v[184:185], s[16:17], v[186:187] op_sel_hi:[1,0,1] neg_lo:[1,0,1] neg_hi:[1,0,1]
	v_pk_fma_f32 v[142:143], v[190:191], s[24:25], v[96:97] op_sel_hi:[1,0,1] neg_lo:[0,0,1] neg_hi:[0,0,1]
	v_pk_fma_f32 v[96:97], v[188:189], s[26:27], v[96:97] op_sel_hi:[1,0,1]
	v_pk_mul_f32 v[194:195], v[190:191], s[24:25] op_sel_hi:[1,0]
	v_mov_b32_e32 v186, v97
	v_mov_b32_e32 v187, v142
	v_pk_add_f32 v[184:185], v[184:185], v[146:147]
	v_pk_add_f32 v[190:191], v[140:141], v[146:147] op_sel:[0,1] op_sel_hi:[1,0]
	v_mov_b32_e32 v140, v192
	v_mov_b32_e32 v141, v147
	;; [unrolled: 1-line block ×5, first 2 shown]
	v_pk_fma_f32 v[188:189], v[188:189], s[26:27], v[194:195] op_sel_hi:[1,0,1] neg_lo:[1,0,1] neg_hi:[1,0,1]
	v_pk_add_f32 v[50:51], v[140:141], v[96:97]
	v_pk_add_f32 v[140:141], v[20:21], v[146:147]
	v_pk_add_f32 v[186:187], v[192:193], v[186:187] op_sel:[1,0] op_sel_hi:[0,1]
	v_pk_fma_f32 v[20:21], v[26:27], s[22:23], v[188:189] op_sel_hi:[1,0,1]
	v_mov_b32_e32 v27, v190
	v_mov_b32_e32 v96, v140
	;; [unrolled: 1-line block ×3, first 2 shown]
	v_pk_add_f32 v[96:97], v[26:27], v[96:97] neg_lo:[0,1] neg_hi:[0,1]
	v_pk_add_f32 v[142:143], v[140:141], v[50:51]
	v_pk_add_f32 v[188:189], v[184:185], v[20:21]
	v_pk_add_f32 v[26:27], v[184:185], v[20:21] neg_lo:[0,1] neg_hi:[0,1]
	v_pk_add_f32 v[184:185], v[50:51], v[140:141] neg_lo:[0,1] neg_hi:[0,1]
	;; [unrolled: 1-line block ×3, first 2 shown]
	v_mov_b32_e32 v96, v142
	v_mov_b32_e32 v76, v187
	;; [unrolled: 1-line block ×3, first 2 shown]
	v_pk_add_f32 v[142:143], v[190:191], v[186:187]
	v_pk_add_f32 v[50:51], v[190:191], v[186:187] neg_lo:[0,1] neg_hi:[0,1]
	v_pk_mul_f32 v[186:187], v[72:73], v[28:29] op_sel_hi:[1,0]
	v_mov_b32_e32 v20, v188
	v_mov_b32_e32 v21, v27
	;; [unrolled: 1-line block ×3, first 2 shown]
	v_pk_fma_f32 v[188:189], v[72:73], v[28:29], v[186:187] op_sel:[0,1,1] op_sel_hi:[1,1,0]
	v_pk_fma_f32 v[72:73], v[72:73], v[28:29], v[186:187] op_sel:[0,1,1] op_sel_hi:[1,1,0] neg_lo:[1,0,0] neg_hi:[1,0,0]
	v_mov_b32_e32 v186, v65
	v_mov_b32_e32 v187, v68
	;; [unrolled: 1-line block ×8, first 2 shown]
	v_pk_mul_f32 v[64:65], v[64:65], v[68:69]
	v_mul_f32_e32 v99, v52, v37
	v_mul_f32_e32 v88, v61, v33
	v_pk_fma_f32 v[68:69], v[186:187], v[30:31], v[64:65]
	v_pk_fma_f32 v[64:65], v[186:187], v[190:191], v[64:65] neg_lo:[0,0,1] neg_hi:[0,0,1]
	v_mov_b32_e32 v186, v61
	v_mov_b32_e32 v187, v52
	v_mov_b32_e32 v61, v53
	v_mov_b32_e32 v52, v33
	v_mov_b32_e32 v53, v37
	v_mov_b32_e32 v190, v32
	v_mov_b32_e32 v191, v36
	v_pk_mul_f32 v[52:53], v[60:61], v[52:53]
	v_fma_f32 v98, v60, v32, -v88
	v_pk_fma_f32 v[60:61], v[186:187], v[32:33], v[52:53]
	v_pk_fma_f32 v[52:53], v[186:187], v[190:191], v[52:53] neg_lo:[0,0,1] neg_hi:[0,0,1]
	v_pk_mul_f32 v[186:187], v[56:57], v[34:35] op_sel_hi:[1,0]
	v_mov_b32_e32 v52, v35
	v_pk_fma_f32 v[190:191], v[56:57], v[52:53], v[186:187] op_sel:[0,0,1] op_sel_hi:[1,0,0]
	v_pk_fma_f32 v[56:57], v[56:57], v[52:53], v[186:187] op_sel:[0,0,1] op_sel_hi:[1,0,0] neg_lo:[1,0,0] neg_hi:[1,0,0]
	v_mul_u32_u24_e32 v50, 0x150, v85
	v_mov_b32_e32 v189, v73
	v_mov_b32_e32 v69, v65
	;; [unrolled: 1-line block ×7, first 2 shown]
	v_add_lshl_u32 v184, v50, v87, 3
	v_pk_add_f32 v[50:51], v[94:95], v[98:99]
	v_pk_add_f32 v[186:187], v[188:189], v[190:191]
	v_pk_add_f32 v[188:189], v[188:189], v[190:191] neg_lo:[0,1] neg_hi:[0,1]
	v_pk_add_f32 v[190:191], v[68:69], v[60:61]
	v_pk_add_f32 v[56:57], v[80:81], v[82:83]
	v_pk_add_f32 v[60:61], v[68:69], v[60:61] neg_lo:[0,1] neg_hi:[0,1]
	v_mov_b32_e32 v68, v57
	v_mov_b32_e32 v69, v94
	;; [unrolled: 1-line block ×8, first 2 shown]
	v_pk_add_f32 v[68:69], v[68:69], v[72:73] neg_lo:[0,1] neg_hi:[0,1]
	v_pk_add_f32 v[98:99], v[50:51], v[56:57]
	v_pk_add_f32 v[52:53], v[52:53], v[64:65]
	v_mov_b32_e32 v82, v68
	v_mov_b32_e32 v83, v189
	v_mov_b32_e32 v64, v52
	v_mov_b32_e32 v51, v99
	v_mov_b32_e32 v72, v188
	v_mov_b32_e32 v73, v61
	v_pk_add_f32 v[82:83], v[82:83], v[60:61] neg_lo:[0,1] neg_hi:[0,1]
	s_mov_b32 s31, s26
	v_pk_add_f32 v[64:65], v[64:65], v[50:51] neg_lo:[0,1] neg_hi:[0,1]
	v_mov_b32_e32 v57, v99
	v_mov_b32_e32 v192, v52
	;; [unrolled: 1-line block ×3, first 2 shown]
	v_pk_add_f32 v[52:53], v[98:99], v[52:53]
	s_mov_b32 s29, s20
	v_pk_add_f32 v[72:73], v[72:73], v[68:69] neg_lo:[0,1] neg_hi:[0,1]
	s_mov_b32 s27, s30
	v_pk_mul_f32 v[82:83], v[82:83], s[30:31]
	v_pk_add_f32 v[94:95], v[60:61], v[68:69]
	v_pk_add_f32 v[192:193], v[56:57], v[192:193] neg_lo:[0,1] neg_hi:[0,1]
	v_pk_add_f32 v[44:45], v[44:45], v[52:53]
	v_pk_mul_f32 v[64:65], v[64:65], s[28:29]
	s_mov_b32 s21, s28
	v_pk_mul_f32 v[80:81], v[72:73], s[26:27]
	v_pk_add_f32 v[94:95], v[94:95], v[188:189]
	v_pk_mul_f32 v[98:99], v[192:193], s[20:21]
	v_pk_fma_f32 v[52:53], v[52:53], s[18:19], v[44:45] op_sel_hi:[1,0,1] neg_lo:[1,0,0] neg_hi:[1,0,0]
	v_pk_fma_f32 v[192:193], v[192:193], s[20:21], v[64:65]
	v_pk_fma_f32 v[72:73], v[72:73], s[26:27], v[82:83]
	v_pk_add_f32 v[192:193], v[192:193], v[52:53]
	v_pk_fma_f32 v[72:73], v[94:95], s[22:23], v[72:73] op_sel_hi:[1,0,1]
	v_mov_b32_e32 v61, v69
	v_pk_add_f32 v[194:195], v[192:193], v[72:73]
	v_pk_add_f32 v[72:73], v[192:193], v[72:73] neg_lo:[0,1] neg_hi:[0,1]
	v_mov_b32_e32 v192, v194
	v_mov_b32_e32 v193, v73
	;; [unrolled: 1-line block ×4, first 2 shown]
	ds_write2_b64 v184, v[44:45], v[192:193] offset1:48
	v_pk_add_f32 v[44:45], v[60:61], v[188:189] neg_lo:[0,1] neg_hi:[0,1]
	v_pk_add_f32 v[50:51], v[50:51], v[56:57] neg_lo:[0,1] neg_hi:[0,1]
	v_mov_b32_e32 v56, v98
	v_mov_b32_e32 v57, v65
	;; [unrolled: 1-line block ×6, first 2 shown]
	v_pk_fma_f32 v[56:57], v[50:51], s[16:17], v[56:57] op_sel_hi:[1,0,1] neg_lo:[1,0,1] neg_hi:[1,0,1]
	v_pk_fma_f32 v[60:61], v[44:45], s[24:25], v[60:61] op_sel_hi:[1,0,1] neg_lo:[1,0,1] neg_hi:[1,0,1]
	;; [unrolled: 1-line block ×4, first 2 shown]
	v_pk_add_f32 v[56:57], v[56:57], v[52:53]
	v_pk_fma_f32 v[60:61], v[94:95], s[22:23], v[60:61] op_sel_hi:[1,0,1]
	v_pk_add_f32 v[50:51], v[50:51], v[52:53]
	v_pk_fma_f32 v[44:45], v[94:95], s[22:23], v[44:45] op_sel_hi:[1,0,1]
	v_pk_add_f32 v[68:69], v[56:57], v[60:61]
	v_pk_add_f32 v[56:57], v[56:57], v[60:61] neg_lo:[0,1] neg_hi:[0,1]
	v_pk_add_f32 v[52:53], v[50:51], v[44:45] neg_lo:[0,1] neg_hi:[0,1]
	v_pk_add_f32 v[44:45], v[50:51], v[44:45]
	v_mov_b32_e32 v61, v57
	v_mov_b32_e32 v51, v45
	;; [unrolled: 1-line block ×6, first 2 shown]
	ds_write2_b64 v184, v[44:45], v[56:57] offset0:192 offset1:240
	v_mov_b32_e32 v56, v67
	v_mov_b32_e32 v67, v71
	;; [unrolled: 1-line block ×4, first 2 shown]
	ds_write2_b64 v184, v[60:61], v[50:51] offset0:96 offset1:144
	v_mov_b32_e32 v57, v70
	v_mov_b32_e32 v60, v18
	;; [unrolled: 1-line block ×3, first 2 shown]
	v_pk_mul_f32 v[64:65], v[66:67], v[64:65]
	v_pk_mul_f32 v[50:51], v[74:75], v[16:17] op_sel_hi:[1,0]
	v_pk_fma_f32 v[66:67], v[56:57], v[18:19], v[64:65]
	v_pk_fma_f32 v[56:57], v[56:57], v[60:61], v[64:65] neg_lo:[0,0,1] neg_hi:[0,0,1]
	v_mov_b32_e32 v60, v63
	v_mov_b32_e32 v61, v54
	;; [unrolled: 1-line block ×5, first 2 shown]
	v_pk_fma_f32 v[52:53], v[74:75], v[16:17], v[50:51] op_sel:[0,1,1] op_sel_hi:[1,1,0]
	v_pk_fma_f32 v[50:51], v[74:75], v[16:17], v[50:51] op_sel:[0,1,1] op_sel_hi:[1,1,0] neg_lo:[1,0,0] neg_hi:[1,0,0]
	v_mov_b32_e32 v64, v12
	v_mov_b32_e32 v65, v40
	v_pk_mul_f32 v[54:55], v[62:63], v[54:55]
	v_mov_b32_e32 v50, v15
	v_pk_fma_f32 v[62:63], v[60:61], v[12:13], v[54:55]
	v_pk_fma_f32 v[54:55], v[60:61], v[64:65], v[54:55] neg_lo:[0,0,1] neg_hi:[0,0,1]
	v_pk_mul_f32 v[60:61], v[58:59], v[14:15] op_sel_hi:[1,0]
	v_pk_add_f32 v[146:147], v[76:77], v[78:79]
	v_pk_fma_f32 v[64:65], v[58:59], v[50:51], v[60:61] op_sel:[0,0,1] op_sel_hi:[1,0,0]
	v_pk_fma_f32 v[58:59], v[58:59], v[50:51], v[60:61] op_sel:[0,0,1] op_sel_hi:[1,0,0] neg_lo:[1,0,0] neg_hi:[1,0,0]
	v_mul_u32_u24_e32 v44, 0x150, v182
	v_mov_b32_e32 v53, v51
	v_mov_b32_e32 v67, v57
	;; [unrolled: 1-line block ×7, first 2 shown]
	v_add_lshl_u32 v185, v44, v196, 3
	v_pk_add_f32 v[44:45], v[92:93], v[90:91]
	v_pk_add_f32 v[60:61], v[52:53], v[64:65]
	v_pk_add_f32 v[52:53], v[52:53], v[64:65] neg_lo:[0,1] neg_hi:[0,1]
	v_pk_add_f32 v[64:65], v[66:67], v[62:63]
	v_pk_add_f32 v[50:51], v[76:77], v[78:79]
	v_pk_add_f32 v[62:63], v[66:67], v[62:63] neg_lo:[0,1] neg_hi:[0,1]
	v_mov_b32_e32 v58, v51
	v_mov_b32_e32 v59, v92
	;; [unrolled: 1-line block ×8, first 2 shown]
	v_pk_add_f32 v[58:59], v[58:59], v[66:67] neg_lo:[0,1] neg_hi:[0,1]
	v_pk_add_f32 v[74:75], v[44:45], v[50:51]
	v_pk_add_f32 v[54:55], v[54:55], v[56:57]
	v_mov_b32_e32 v70, v58
	v_mov_b32_e32 v71, v53
	;; [unrolled: 1-line block ×7, first 2 shown]
	v_pk_add_f32 v[70:71], v[70:71], v[62:63] neg_lo:[0,1] neg_hi:[0,1]
	v_pk_add_f32 v[56:57], v[56:57], v[44:45] neg_lo:[0,1] neg_hi:[0,1]
	v_mov_b32_e32 v51, v75
	v_mov_b32_e32 v76, v54
	;; [unrolled: 1-line block ×3, first 2 shown]
	v_pk_add_f32 v[54:55], v[74:75], v[54:55]
	ds_write_b64 v184, v[72:73] offset:2304
	v_pk_add_f32 v[66:67], v[66:67], v[58:59] neg_lo:[0,1] neg_hi:[0,1]
	v_pk_mul_f32 v[70:71], v[70:71], s[30:31]
	v_pk_add_f32 v[72:73], v[62:63], v[58:59]
	v_pk_add_f32 v[76:77], v[50:51], v[76:77] neg_lo:[0,1] neg_hi:[0,1]
	v_pk_add_f32 v[46:47], v[46:47], v[54:55]
	v_pk_mul_f32 v[56:57], v[56:57], s[28:29]
	v_pk_mul_f32 v[68:69], v[66:67], s[26:27]
	v_pk_add_f32 v[72:73], v[72:73], v[52:53]
	v_pk_mul_f32 v[74:75], v[76:77], s[20:21]
	v_pk_fma_f32 v[54:55], v[54:55], s[18:19], v[46:47] op_sel_hi:[1,0,1] neg_lo:[1,0,0] neg_hi:[1,0,0]
	v_pk_fma_f32 v[76:77], v[76:77], s[20:21], v[56:57]
	v_pk_fma_f32 v[66:67], v[66:67], s[26:27], v[70:71]
	v_pk_add_f32 v[76:77], v[76:77], v[54:55]
	v_pk_fma_f32 v[66:67], v[72:73], s[22:23], v[66:67] op_sel_hi:[1,0,1]
	v_mov_b32_e32 v63, v59
	v_pk_add_f32 v[78:79], v[76:77], v[66:67]
	v_pk_add_f32 v[66:67], v[76:77], v[66:67] neg_lo:[0,1] neg_hi:[0,1]
	v_mov_b32_e32 v76, v78
	v_mov_b32_e32 v77, v67
	;; [unrolled: 1-line block ×4, first 2 shown]
	ds_write2_b64 v185, v[46:47], v[76:77] offset1:48
	v_pk_add_f32 v[46:47], v[62:63], v[52:53] neg_lo:[0,1] neg_hi:[0,1]
	v_pk_add_f32 v[44:45], v[44:45], v[50:51] neg_lo:[0,1] neg_hi:[0,1]
	v_mov_b32_e32 v50, v74
	v_mov_b32_e32 v51, v57
	v_mov_b32_e32 v52, v68
	v_mov_b32_e32 v53, v71
	v_mov_b32_e32 v57, v75
	v_mov_b32_e32 v71, v69
	v_pk_fma_f32 v[50:51], v[44:45], s[16:17], v[50:51] op_sel_hi:[1,0,1] neg_lo:[1,0,1] neg_hi:[1,0,1]
	v_pk_fma_f32 v[52:53], v[46:47], s[24:25], v[52:53] op_sel_hi:[1,0,1] neg_lo:[1,0,1] neg_hi:[1,0,1]
	;; [unrolled: 1-line block ×4, first 2 shown]
	v_pk_add_f32 v[50:51], v[50:51], v[54:55]
	v_pk_fma_f32 v[52:53], v[72:73], s[22:23], v[52:53] op_sel_hi:[1,0,1]
	v_pk_add_f32 v[44:45], v[44:45], v[54:55]
	v_pk_fma_f32 v[46:47], v[72:73], s[22:23], v[46:47] op_sel_hi:[1,0,1]
	v_pk_add_f32 v[58:59], v[50:51], v[52:53]
	v_pk_add_f32 v[50:51], v[50:51], v[52:53] neg_lo:[0,1] neg_hi:[0,1]
	v_pk_add_f32 v[54:55], v[44:45], v[46:47] neg_lo:[0,1] neg_hi:[0,1]
	v_pk_add_f32 v[44:45], v[44:45], v[46:47]
	v_mov_b32_e32 v52, v58
	v_mov_b32_e32 v53, v51
	;; [unrolled: 1-line block ×7, first 2 shown]
	v_lshlrev_b32_e32 v182, 3, v197
	ds_write2_b64 v185, v[52:53], v[46:47] offset0:96 offset1:144
	ds_write2_b64 v185, v[44:45], v[50:51] offset0:192 offset1:240
	ds_write_b64 v185, v[66:67] offset:2304
	s_and_saveexec_b64 s[16:17], s[2:3]
	s_cbranch_execz .LBB0_23
; %bb.22:
	v_add_u32_e32 v46, 0x2800, v182
	v_mov_b32_e32 v44, v143
	v_mov_b32_e32 v45, v141
	ds_write2_b64 v46, v[20:21], v[44:45] offset0:160 offset1:208
	v_add_u32_e32 v44, 0x3000, v182
	ds_write2_b64 v44, v[146:147], v[26:27] offset1:48
	v_mov_b32_e32 v44, v140
	v_mov_b32_e32 v45, v142
	ds_write2_b64 v46, v[48:49], v[96:97] offset0:64 offset1:112
	ds_write_b64 v182, v[44:45] offset:13056
.LBB0_23:
	s_or_b64 exec, exec, s[16:17]
	v_lshlrev_b32_e32 v44, 5, v86
	v_lshlrev_b32_e32 v52, 5, v116
	s_waitcnt lgkmcnt(0)
	s_barrier
	global_load_dwordx4 v[48:51], v44, s[0:1] offset:2672
	s_nop 0
	global_load_dwordx4 v[44:47], v44, s[0:1] offset:2688
	s_nop 0
	global_load_dwordx4 v[64:67], v52, s[0:1] offset:2672
	global_load_dwordx4 v[60:63], v52, s[0:1] offset:2688
	v_lshlrev_b32_e32 v52, 5, v84
	global_load_dwordx4 v[56:59], v52, s[0:1] offset:2672
	s_nop 0
	global_load_dwordx4 v[52:55], v52, s[0:1] offset:2688
	v_lshlrev_b32_e32 v88, 3, v116
	v_add_u32_e32 v76, 0x400, v102
	v_add_u32_e32 v77, 0xc00, v102
	;; [unrolled: 1-line block ×4, first 2 shown]
	ds_read_b64 v[70:71], v102 offset:12544
	ds_read2_b64 v[78:81], v102 offset1:112
	v_add_u32_e32 v72, 0x1400, v102
	v_add_u32_e32 v186, 0x2800, v102
	v_lshl_add_u64 v[68:69], s[14:15], 0, v[88:89]
	ds_read2_b64 v[82:85], v76 offset0:96 offset1:208
	ds_read2_b64 v[86:89], v77 offset0:64 offset1:176
	;; [unrolled: 1-line block ×6, first 2 shown]
	s_mov_b32 s16, 0x3f737871
	s_mov_b32 s18, 0x3f167918
	;; [unrolled: 1-line block ×3, first 2 shown]
	s_waitcnt vmcnt(5) lgkmcnt(4)
	v_pk_mul_f32 v[74:75], v[88:89], v[48:49] op_sel:[0,1]
	v_mov_b32_e32 v94, v51
	s_waitcnt vmcnt(4) lgkmcnt(2)
	v_pk_mul_f32 v[98:99], v[190:191], v[44:45] op_sel:[0,1]
	v_mov_b32_e32 v200, v47
	s_waitcnt vmcnt(3)
	v_pk_mul_f32 v[202:203], v[84:85], v[64:65] op_sel:[0,1]
	v_mov_b32_e32 v204, v67
	s_waitcnt vmcnt(2)
	;; [unrolled: 3-line block ×3, first 2 shown]
	v_pk_mul_f32 v[210:211], v[86:87], v[56:57] op_sel:[0,1]
	v_mov_b32_e32 v212, v59
	v_pk_fma_f32 v[214:215], v[88:89], v[48:49], v[74:75] op_sel:[0,0,1] op_sel_hi:[1,1,0] neg_lo:[0,0,1] neg_hi:[0,0,1]
	v_pk_fma_f32 v[74:75], v[88:89], v[48:49], v[74:75] op_sel:[0,0,1] op_sel_hi:[1,0,0]
	v_pk_mul_f32 v[88:89], v[90:91], v[94:95] op_sel_hi:[1,0]
	v_pk_fma_f32 v[94:95], v[190:191], v[44:45], v[98:99] op_sel:[0,0,1] op_sel_hi:[1,1,0] neg_lo:[0,0,1] neg_hi:[0,0,1]
	v_pk_fma_f32 v[98:99], v[190:191], v[44:45], v[98:99] op_sel:[0,0,1] op_sel_hi:[1,0,0]
	v_pk_mul_f32 v[190:191], v[70:71], v[200:201] op_sel_hi:[1,0]
	v_pk_fma_f32 v[200:201], v[84:85], v[64:65], v[202:203] op_sel:[0,0,1] op_sel_hi:[1,1,0] neg_lo:[0,0,1] neg_hi:[0,0,1]
	v_pk_fma_f32 v[84:85], v[84:85], v[64:65], v[202:203] op_sel:[0,0,1] op_sel_hi:[1,0,0]
	s_waitcnt lgkmcnt(1)
	v_pk_mul_f32 v[202:203], v[192:193], v[204:205] op_sel_hi:[1,0]
	v_pk_fma_f32 v[204:205], v[92:93], v[60:61], v[206:207] op_sel:[0,0,1] op_sel_hi:[1,1,0] neg_lo:[0,0,1] neg_hi:[0,0,1]
	v_pk_fma_f32 v[92:93], v[92:93], v[60:61], v[206:207] op_sel:[0,0,1] op_sel_hi:[1,0,0]
	s_waitcnt lgkmcnt(0)
	v_pk_mul_f32 v[206:207], v[196:197], v[208:209] op_sel_hi:[1,0]
	v_pk_fma_f32 v[208:209], v[86:87], v[56:57], v[210:211] op_sel:[0,0,1] op_sel_hi:[1,1,0] neg_lo:[0,0,1] neg_hi:[0,0,1]
	v_pk_fma_f32 v[86:87], v[86:87], v[56:57], v[210:211] op_sel:[0,0,1] op_sel_hi:[1,0,0]
	v_pk_mul_f32 v[210:211], v[194:195], v[212:213] op_sel_hi:[1,0]
	v_mov_b32_e32 v95, v99
	v_mov_b32_e32 v201, v85
	v_pk_fma_f32 v[84:85], v[192:193], v[66:67], v[202:203] op_sel:[0,0,1] op_sel_hi:[1,1,0] neg_lo:[0,0,1] neg_hi:[0,0,1]
	v_pk_fma_f32 v[98:99], v[192:193], v[66:67], v[202:203] op_sel:[0,0,1] op_sel_hi:[1,0,0]
	v_pk_fma_f32 v[202:203], v[194:195], v[58:59], v[210:211] op_sel:[0,0,1] op_sel_hi:[1,1,0] neg_lo:[0,0,1] neg_hi:[0,0,1]
	v_pk_fma_f32 v[194:195], v[194:195], v[58:59], v[210:211] op_sel:[0,0,1] op_sel_hi:[1,0,0]
	v_mov_b32_e32 v215, v75
	v_mov_b32_e32 v203, v195
	s_waitcnt vmcnt(0)
	v_pk_mul_f32 v[194:195], v[188:189], v[52:53] op_sel:[0,1]
	v_pk_fma_f32 v[74:75], v[90:91], v[50:51], v[88:89] op_sel:[0,0,1] op_sel_hi:[1,1,0] neg_lo:[0,0,1] neg_hi:[0,0,1]
	v_pk_fma_f32 v[88:89], v[90:91], v[50:51], v[88:89] op_sel:[0,0,1] op_sel_hi:[1,0,0]
	v_pk_fma_f32 v[90:91], v[70:71], v[46:47], v[190:191] op_sel:[0,0,1] op_sel_hi:[1,1,0] neg_lo:[0,0,1] neg_hi:[0,0,1]
	v_pk_fma_f32 v[70:71], v[70:71], v[46:47], v[190:191] op_sel:[0,0,1] op_sel_hi:[1,0,0]
	v_mov_b32_e32 v205, v93
	v_pk_fma_f32 v[92:93], v[196:197], v[62:63], v[206:207] op_sel:[0,0,1] op_sel_hi:[1,1,0] neg_lo:[0,0,1] neg_hi:[0,0,1]
	v_pk_fma_f32 v[190:191], v[196:197], v[62:63], v[206:207] op_sel:[0,0,1] op_sel_hi:[1,0,0]
	v_pk_fma_f32 v[206:207], v[188:189], v[52:53], v[194:195] op_sel:[0,0,1] op_sel_hi:[1,1,0] neg_lo:[0,0,1] neg_hi:[0,0,1]
	v_pk_fma_f32 v[188:189], v[188:189], v[52:53], v[194:195] op_sel:[0,0,1] op_sel_hi:[1,0,0]
	v_mov_b32_e32 v85, v99
	v_mov_b32_e32 v188, v55
	;; [unrolled: 1-line block ×4, first 2 shown]
	v_pk_mul_f32 v[188:189], v[198:199], v[188:189] op_sel_hi:[1,0]
	v_pk_add_f32 v[210:211], v[200:201], v[92:93] neg_lo:[0,1] neg_hi:[0,1]
	v_pk_fma_f32 v[194:195], v[198:199], v[54:55], v[188:189] op_sel:[0,0,1] op_sel_hi:[1,1,0] neg_lo:[0,0,1] neg_hi:[0,0,1]
	v_pk_fma_f32 v[188:189], v[198:199], v[54:55], v[188:189] op_sel:[0,0,1] op_sel_hi:[1,0,0]
	v_pk_add_f32 v[198:199], v[84:85], v[204:205]
	v_pk_mul_f32 v[212:213], v[210:211], s[16:17] op_sel_hi:[1,0]
	v_pk_fma_f32 v[198:199], v[198:199], 0.5, v[78:79] op_sel_hi:[1,0,1] neg_lo:[1,0,0] neg_hi:[1,0,0]
	v_pk_add_f32 v[216:217], v[84:85], v[204:205] neg_lo:[0,1] neg_hi:[0,1]
	v_pk_add_f32 v[220:221], v[200:201], v[84:85] neg_lo:[0,1] neg_hi:[0,1]
	;; [unrolled: 1-line block ×3, first 2 shown]
	v_pk_mul_f32 v[218:219], v[216:217], s[18:19] op_sel_hi:[1,0]
	v_pk_add_f32 v[220:221], v[220:221], v[222:223]
	v_pk_add_f32 v[222:223], v[198:199], v[212:213] op_sel:[0,1] op_sel_hi:[1,0]
	v_pk_add_f32 v[198:199], v[198:199], v[212:213] op_sel:[0,1] op_sel_hi:[1,0] neg_lo:[0,1] neg_hi:[0,1]
	v_mov_b32_e32 v91, v71
	v_pk_add_f32 v[70:71], v[78:79], v[200:201]
	v_pk_add_f32 v[198:199], v[198:199], v[218:219] op_sel:[0,1] op_sel_hi:[1,0] neg_lo:[0,1] neg_hi:[0,1]
	v_pk_add_f32 v[212:213], v[222:223], v[218:219] op_sel:[0,1] op_sel_hi:[1,0]
	v_pk_add_f32 v[70:71], v[70:71], v[84:85]
	v_mov_b32_e32 v219, v199
	v_mov_b32_e32 v199, v213
	v_pk_add_f32 v[70:71], v[70:71], v[204:205]
	v_mov_b32_e32 v218, v212
	v_pk_fma_f32 v[198:199], v[220:221], s[0:1], v[198:199] op_sel_hi:[1,0,1]
	v_pk_add_f32 v[70:71], v[70:71], v[92:93]
	v_pk_fma_f32 v[218:219], v[220:221], s[0:1], v[218:219] op_sel_hi:[1,0,1]
	ds_write_b64 v102, v[198:199] offset:10752
	ds_write_b64 v102, v[218:219] offset:2688
	v_pk_add_f32 v[198:199], v[200:201], v[92:93]
	v_pk_add_f32 v[84:85], v[84:85], v[200:201] neg_lo:[0,1] neg_hi:[0,1]
	v_pk_add_f32 v[92:93], v[204:205], v[92:93] neg_lo:[0,1] neg_hi:[0,1]
	v_pk_fma_f32 v[78:79], v[198:199], 0.5, v[78:79] op_sel_hi:[1,0,1] neg_lo:[1,0,0] neg_hi:[1,0,0]
	v_pk_add_f32 v[84:85], v[84:85], v[92:93]
	v_pk_mul_f32 v[92:93], v[216:217], s[16:17] op_sel_hi:[1,0]
	v_mov_b32_e32 v209, v87
	v_pk_mul_f32 v[198:199], v[210:211], s[18:19] op_sel_hi:[1,0]
	v_pk_add_f32 v[200:201], v[78:79], v[92:93] op_sel:[0,1] op_sel_hi:[1,0] neg_lo:[0,1] neg_hi:[0,1]
	v_pk_add_f32 v[78:79], v[78:79], v[92:93] op_sel:[0,1] op_sel_hi:[1,0]
	v_mov_b32_e32 v195, v189
	v_pk_add_f32 v[188:189], v[80:81], v[208:209]
	v_pk_add_f32 v[78:79], v[78:79], v[198:199] op_sel:[0,1] op_sel_hi:[1,0] neg_lo:[0,1] neg_hi:[0,1]
	v_pk_add_f32 v[92:93], v[200:201], v[198:199] op_sel:[0,1] op_sel_hi:[1,0]
	v_pk_add_f32 v[188:189], v[188:189], v[202:203]
	v_mov_b32_e32 v198, v92
	v_mov_b32_e32 v199, v79
	;; [unrolled: 1-line block ×3, first 2 shown]
	v_pk_add_f32 v[188:189], v[188:189], v[206:207]
	v_pk_fma_f32 v[198:199], v[84:85], s[0:1], v[198:199] op_sel_hi:[1,0,1]
	v_pk_fma_f32 v[78:79], v[84:85], s[0:1], v[78:79] op_sel_hi:[1,0,1]
	v_pk_add_f32 v[188:189], v[188:189], v[194:195]
	ds_write_b64 v102, v[198:199] offset:5376
	ds_write_b64 v102, v[78:79] offset:8064
	ds_write2_b64 v102, v[70:71], v[188:189] offset1:112
	v_pk_add_f32 v[70:71], v[202:203], v[206:207]
	v_pk_add_f32 v[78:79], v[208:209], v[194:195] neg_lo:[0,1] neg_hi:[0,1]
	v_pk_fma_f32 v[70:71], v[70:71], 0.5, v[80:81] op_sel_hi:[1,0,1] neg_lo:[1,0,0] neg_hi:[1,0,0]
	v_pk_mul_f32 v[84:85], v[78:79], s[16:17] op_sel_hi:[1,0]
	v_pk_add_f32 v[92:93], v[202:203], v[206:207] neg_lo:[0,1] neg_hi:[0,1]
	v_pk_add_f32 v[198:199], v[208:209], v[202:203] neg_lo:[0,1] neg_hi:[0,1]
	;; [unrolled: 1-line block ×3, first 2 shown]
	v_pk_mul_f32 v[188:189], v[92:93], s[18:19] op_sel_hi:[1,0]
	v_pk_add_f32 v[198:199], v[198:199], v[200:201]
	v_pk_add_f32 v[200:201], v[70:71], v[84:85] op_sel:[0,1] op_sel_hi:[1,0]
	v_pk_add_f32 v[70:71], v[70:71], v[84:85] op_sel:[0,1] op_sel_hi:[1,0] neg_lo:[0,1] neg_hi:[0,1]
	v_pk_add_f32 v[84:85], v[200:201], v[188:189] op_sel:[0,1] op_sel_hi:[1,0]
	v_pk_add_f32 v[70:71], v[70:71], v[188:189] op_sel:[0,1] op_sel_hi:[1,0] neg_lo:[0,1] neg_hi:[0,1]
	v_mov_b32_e32 v75, v89
	v_mov_b32_e32 v189, v71
	;; [unrolled: 1-line block ×3, first 2 shown]
	v_pk_add_f32 v[86:87], v[74:75], v[94:95]
	v_pk_add_f32 v[200:201], v[208:209], v[194:195]
	v_pk_fma_f32 v[70:71], v[198:199], s[0:1], v[70:71] op_sel_hi:[1,0,1]
	v_pk_add_f32 v[88:89], v[214:215], v[90:91] neg_lo:[0,1] neg_hi:[0,1]
	v_pk_add_f32 v[98:99], v[214:215], v[74:75] neg_lo:[0,1] neg_hi:[0,1]
	;; [unrolled: 1-line block ×3, first 2 shown]
	v_pk_fma_f32 v[86:87], v[86:87], 0.5, v[82:83] op_sel_hi:[1,0,1] neg_lo:[1,0,0] neg_hi:[1,0,0]
	v_pk_fma_f32 v[80:81], v[200:201], 0.5, v[80:81] op_sel_hi:[1,0,1] neg_lo:[1,0,0] neg_hi:[1,0,0]
	v_pk_add_f32 v[200:201], v[202:203], v[208:209] neg_lo:[0,1] neg_hi:[0,1]
	v_pk_add_f32 v[194:195], v[206:207], v[194:195] neg_lo:[0,1] neg_hi:[0,1]
	v_pk_mul_f32 v[92:93], v[92:93], s[16:17] op_sel_hi:[1,0]
	ds_write_b64 v102, v[70:71] offset:11648
	v_pk_add_f32 v[70:71], v[82:83], v[214:215]
	v_pk_add_f32 v[190:191], v[74:75], v[94:95] neg_lo:[0,1] neg_hi:[0,1]
	v_pk_add_f32 v[192:193], v[98:99], v[192:193]
	v_pk_fma_f32 v[98:99], v[88:89], s[16:17], v[86:87] op_sel:[1,0,0] op_sel_hi:[0,0,1] neg_lo:[1,0,0] neg_hi:[1,0,0]
	v_pk_fma_f32 v[86:87], v[88:89], s[16:17], v[86:87] op_sel:[1,0,0] op_sel_hi:[0,0,1]
	v_pk_add_f32 v[194:195], v[200:201], v[194:195]
	v_pk_mul_f32 v[78:79], v[78:79], s[18:19] op_sel_hi:[1,0]
	v_pk_add_f32 v[200:201], v[80:81], v[92:93] op_sel:[0,1] op_sel_hi:[1,0] neg_lo:[0,1] neg_hi:[0,1]
	v_pk_add_f32 v[80:81], v[80:81], v[92:93] op_sel:[0,1] op_sel_hi:[1,0]
	v_pk_add_f32 v[70:71], v[70:71], v[74:75]
	v_pk_fma_f32 v[86:87], v[190:191], s[18:19], v[86:87] op_sel:[1,0,0] op_sel_hi:[0,0,1]
	v_pk_fma_f32 v[196:197], v[190:191], s[18:19], v[98:99] op_sel:[1,0,0] op_sel_hi:[0,0,1] neg_lo:[1,0,0] neg_hi:[1,0,0]
	v_pk_add_f32 v[80:81], v[80:81], v[78:79] op_sel:[0,1] op_sel_hi:[1,0] neg_lo:[0,1] neg_hi:[0,1]
	v_pk_add_f32 v[78:79], v[200:201], v[78:79] op_sel:[0,1] op_sel_hi:[1,0]
	v_pk_add_f32 v[70:71], v[70:71], v[94:95]
	v_mov_b32_e32 v99, v87
	v_mov_b32_e32 v188, v84
	;; [unrolled: 1-line block ×5, first 2 shown]
	v_pk_add_f32 v[70:71], v[70:71], v[90:91]
	v_mov_b32_e32 v87, v197
	v_pk_fma_f32 v[188:189], v[198:199], s[0:1], v[188:189] op_sel_hi:[1,0,1]
	v_pk_fma_f32 v[92:93], v[194:195], s[0:1], v[92:93] op_sel_hi:[1,0,1]
	;; [unrolled: 1-line block ×3, first 2 shown]
	ds_write_b64 v102, v[70:71] offset:1792
	v_pk_fma_f32 v[70:71], v[192:193], s[0:1], v[86:87] op_sel_hi:[1,0,1]
	ds_write_b64 v102, v[92:93] offset:6272
	ds_write_b64 v102, v[78:79] offset:8960
	ds_write2_b64 v77, v[188:189], v[70:71] offset0:64 offset1:176
	v_pk_add_f32 v[70:71], v[214:215], v[90:91]
	v_pk_add_f32 v[74:75], v[74:75], v[214:215] neg_lo:[0,1] neg_hi:[0,1]
	v_pk_fma_f32 v[70:71], v[70:71], 0.5, v[82:83] op_sel_hi:[1,0,1] neg_lo:[1,0,0] neg_hi:[1,0,0]
	v_pk_add_f32 v[78:79], v[94:95], v[90:91] neg_lo:[0,1] neg_hi:[0,1]
	v_mov_b32_e32 v98, v196
	v_pk_add_f32 v[74:75], v[74:75], v[78:79]
	v_pk_fma_f32 v[78:79], v[190:191], s[16:17], v[70:71] op_sel:[1,0,0] op_sel_hi:[0,0,1] neg_lo:[1,0,0] neg_hi:[1,0,0]
	v_pk_fma_f32 v[70:71], v[190:191], s[16:17], v[70:71] op_sel:[1,0,0] op_sel_hi:[0,0,1]
	v_pk_fma_f32 v[70:71], v[88:89], s[18:19], v[70:71] op_sel:[1,0,0] op_sel_hi:[0,0,1] neg_lo:[1,0,0] neg_hi:[1,0,0]
	v_pk_fma_f32 v[78:79], v[88:89], s[18:19], v[78:79] op_sel:[1,0,0] op_sel_hi:[0,0,1]
	v_mov_b32_e32 v80, v78
	v_mov_b32_e32 v81, v71
	;; [unrolled: 1-line block ×3, first 2 shown]
	v_pk_fma_f32 v[98:99], v[192:193], s[0:1], v[98:99] op_sel_hi:[1,0,1]
	v_pk_fma_f32 v[80:81], v[74:75], s[0:1], v[80:81] op_sel_hi:[1,0,1]
	;; [unrolled: 1-line block ×3, first 2 shown]
	s_movk_i32 s0, 0x3000
	ds_write_b64 v102, v[80:81] offset:7168
	ds_write_b64 v102, v[70:71] offset:9856
	;; [unrolled: 1-line block ×3, first 2 shown]
	v_add_co_u32_e32 v70, vcc, s0, v68
	s_waitcnt lgkmcnt(0)
	s_nop 0
	v_addc_co_u32_e32 v71, vcc, 0, v69, vcc
	s_barrier
	global_load_dwordx2 v[74:75], v[70:71], off offset:1152
	s_movk_i32 s0, 0x4000
	v_add_co_u32_e32 v78, vcc, s0, v68
	s_mov_b64 s[0:1], 0x3480
	s_nop 0
	v_addc_co_u32_e32 v79, vcc, 0, v69, vcc
	global_load_dwordx2 v[86:87], v[78:79], off offset:3776
	v_lshl_add_u64 v[70:71], v[68:69], 0, s[0:1]
	global_load_dwordx2 v[88:89], v[70:71], off offset:896
	s_movk_i32 s0, 0x5000
	v_add_co_u32_e32 v80, vcc, s0, v68
	s_movk_i32 s0, 0x6000
	s_nop 0
	v_addc_co_u32_e32 v81, vcc, 0, v69, vcc
	global_load_dwordx2 v[90:91], v[80:81], off offset:576
	global_load_dwordx2 v[92:93], v[70:71], off offset:1792
	;; [unrolled: 1-line block ×8, first 2 shown]
	v_add_co_u32_e32 v68, vcc, s0, v68
	s_nop 1
	v_addc_co_u32_e32 v69, vcc, 0, v69, vcc
	global_load_dwordx2 v[198:199], v[68:69], off offset:64
	global_load_dwordx2 v[200:201], v[78:79], off offset:2432
	;; [unrolled: 1-line block ×3, first 2 shown]
	ds_read2_b64 v[78:81], v102 offset1:112
	s_waitcnt vmcnt(13) lgkmcnt(0)
	v_mul_f32_e32 v68, v79, v75
	v_mul_f32_e32 v69, v78, v75
	v_fma_f32 v68, v78, v74, -v68
	v_fmac_f32_e32 v69, v79, v74
	ds_write_b64 v102, v[68:69]
	ds_read2_b64 v[82:85], v72 offset0:32 offset1:200
	s_waitcnt vmcnt(11)
	v_mul_f32_e32 v69, v81, v89
	s_waitcnt lgkmcnt(0)
	v_mul_f32_e32 v68, v85, v87
	v_fma_f32 v74, v84, v86, -v68
	v_mul_f32_e32 v75, v84, v87
	v_add_u32_e32 v68, 0x1c00, v102
	v_fmac_f32_e32 v75, v85, v86
	ds_read2_b64 v[84:87], v68 offset0:56 offset1:168
	v_mul_f32_e32 v205, v80, v89
	v_fma_f32 v204, v80, v88, -v69
	v_fmac_f32_e32 v205, v81, v88
	ds_read2_b64 v[78:81], v76 offset0:96 offset1:208
	s_waitcnt vmcnt(10) lgkmcnt(1)
	v_mul_f32_e32 v69, v85, v91
	v_mul_f32_e32 v89, v84, v91
	v_fma_f32 v88, v84, v90, -v69
	v_fmac_f32_e32 v89, v85, v90
	ds_write2_b64 v73, v[74:75], v[88:89] offset0:72 offset1:184
	s_waitcnt vmcnt(9) lgkmcnt(1)
	v_mul_f32_e32 v69, v79, v93
	v_mul_f32_e32 v75, v78, v93
	v_fma_f32 v74, v78, v92, -v69
	v_fmac_f32_e32 v75, v79, v92
	s_waitcnt vmcnt(8)
	v_mul_f32_e32 v69, v87, v95
	ds_write2_b64 v102, v[204:205], v[74:75] offset0:112 offset1:224
	v_fma_f32 v74, v86, v94, -v69
	v_mul_f32_e32 v75, v86, v95
	v_add_u32_e32 v69, 0x2400, v102
	v_fmac_f32_e32 v75, v87, v94
	ds_read2_b64 v[84:87], v69 offset0:24 offset1:136
	s_waitcnt vmcnt(7)
	v_mul_f32_e32 v73, v81, v189
	v_mul_f32_e32 v89, v80, v189
	v_fma_f32 v88, v80, v188, -v73
	v_fmac_f32_e32 v89, v81, v188
	ds_read2_b64 v[78:81], v77 offset0:64 offset1:176
	s_waitcnt vmcnt(6) lgkmcnt(1)
	v_mul_f32_e32 v73, v85, v191
	v_mul_f32_e32 v91, v84, v191
	v_fma_f32 v90, v84, v190, -v73
	v_fmac_f32_e32 v91, v85, v190
	ds_write2_b64 v187, v[74:75], v[90:91] offset0:40 offset1:152
	s_waitcnt vmcnt(5) lgkmcnt(1)
	v_mul_f32_e32 v73, v79, v193
	v_mul_f32_e32 v75, v78, v193
	v_fma_f32 v74, v78, v192, -v73
	v_fmac_f32_e32 v75, v79, v192
	v_add_u32_e32 v73, 0x800, v102
	ds_write2_b64 v73, v[88:89], v[74:75] offset0:80 offset1:192
	s_waitcnt vmcnt(4)
	v_mul_f32_e32 v73, v87, v195
	v_mul_f32_e32 v75, v86, v195
	v_fma_f32 v74, v86, v194, -v73
	v_fmac_f32_e32 v75, v87, v194
	ds_read2_b64 v[84:87], v186 offset0:120 offset1:232
	s_waitcnt vmcnt(3)
	v_mul_f32_e32 v73, v81, v197
	v_mul_f32_e32 v79, v80, v197
	v_fma_f32 v78, v80, v196, -v73
	v_fmac_f32_e32 v79, v81, v196
	s_waitcnt vmcnt(2) lgkmcnt(0)
	v_mul_f32_e32 v73, v85, v199
	v_mul_f32_e32 v81, v84, v199
	v_fma_f32 v80, v84, v198, -v73
	v_fmac_f32_e32 v81, v85, v198
	ds_write2_b64 v186, v[74:75], v[80:81] offset0:8 offset1:120
	s_waitcnt vmcnt(1)
	v_mul_f32_e32 v73, v83, v201
	v_mul_f32_e32 v75, v82, v201
	v_fma_f32 v74, v82, v200, -v73
	v_fmac_f32_e32 v75, v83, v200
	v_add_u32_e32 v73, 0x1000, v102
	ds_write2_b64 v73, v[78:79], v[74:75] offset0:48 offset1:160
	s_waitcnt vmcnt(0)
	v_mul_f32_e32 v73, v87, v203
	v_mul_f32_e32 v75, v86, v203
	v_fma_f32 v74, v86, v202, -v73
	v_fmac_f32_e32 v75, v87, v202
	ds_write_b64 v102, v[74:75] offset:12096
	s_and_saveexec_b64 s[0:1], s[6:7]
	s_cbranch_execz .LBB0_25
; %bb.24:
	v_add_co_u32_e32 v74, vcc, 0x1000, v70
	s_nop 1
	v_addc_co_u32_e32 v75, vcc, 0, v71, vcc
	v_add_co_u32_e32 v70, vcc, 0x3000, v70
	global_load_dwordx2 v[74:75], v[74:75], off offset:2176
	s_nop 0
	v_addc_co_u32_e32 v71, vcc, 0, v71, vcc
	global_load_dwordx2 v[70:71], v[70:71], off offset:704
	ds_read_b64 v[78:79], v102 offset:6272
	ds_read_b64 v[80:81], v102 offset:12992
	s_waitcnt vmcnt(1) lgkmcnt(1)
	v_mul_f32_e32 v73, v79, v75
	v_mul_f32_e32 v83, v78, v75
	v_fma_f32 v82, v78, v74, -v73
	s_waitcnt vmcnt(0) lgkmcnt(0)
	v_mul_f32_e32 v73, v81, v71
	v_mul_f32_e32 v75, v80, v71
	v_fmac_f32_e32 v83, v79, v74
	v_fma_f32 v74, v80, v70, -v73
	v_fmac_f32_e32 v75, v81, v70
	ds_write_b64 v102, v[82:83] offset:6272
	ds_write_b64 v102, v[74:75] offset:12992
.LBB0_25:
	s_or_b64 exec, exec, s[0:1]
	s_waitcnt lgkmcnt(0)
	s_barrier
	ds_read2_b64 v[84:87], v102 offset1:112
	ds_read2_b64 v[72:75], v72 offset0:32 offset1:200
	ds_read2_b64 v[92:95], v68 offset0:56 offset1:168
	;; [unrolled: 1-line block ×6, first 2 shown]
	v_lshlrev_b32_e32 v186, 3, v153
	v_lshlrev_b32_e32 v153, 3, v164
	s_and_saveexec_b64 s[0:1], s[6:7]
	s_cbranch_execz .LBB0_27
; %bb.26:
	ds_read_b64 v[98:99], v102 offset:6272
	ds_read_b64 v[96:97], v102 offset:12992
.LBB0_27:
	s_or_b64 exec, exec, s[0:1]
	s_waitcnt lgkmcnt(5)
	v_pk_add_f32 v[190:191], v[84:85], v[74:75] neg_lo:[0,1] neg_hi:[0,1]
	s_waitcnt lgkmcnt(4)
	v_pk_add_f32 v[92:93], v[86:87], v[92:93] neg_lo:[0,1] neg_hi:[0,1]
	;; [unrolled: 2-line block ×5, first 2 shown]
	v_pk_fma_f32 v[188:189], v[84:85], 2.0, v[190:191] op_sel_hi:[1,0,1] neg_lo:[0,0,1] neg_hi:[0,0,1]
	v_pk_fma_f32 v[90:91], v[86:87], 2.0, v[92:93] op_sel_hi:[1,0,1] neg_lo:[0,0,1] neg_hi:[0,0,1]
	s_waitcnt lgkmcnt(0)
	v_pk_add_f32 v[194:195], v[78:79], v[68:69] neg_lo:[0,1] neg_hi:[0,1]
	v_pk_add_f32 v[74:75], v[72:73], v[70:71] neg_lo:[0,1] neg_hi:[0,1]
	v_pk_add_f32 v[70:71], v[98:99], v[96:97] neg_lo:[0,1] neg_hi:[0,1]
	s_barrier
	ds_write_b128 v127, v[188:191]
	ds_write_b128 v148, v[90:93]
	v_pk_fma_f32 v[92:93], v[80:81], 2.0, v[94:95] op_sel_hi:[1,0,1] neg_lo:[0,0,1] neg_hi:[0,0,1]
	v_pk_fma_f32 v[86:87], v[82:83], 2.0, v[88:89] op_sel_hi:[1,0,1] neg_lo:[0,0,1] neg_hi:[0,0,1]
	;; [unrolled: 1-line block ×4, first 2 shown]
	ds_write_b128 v149, v[92:95]
	ds_write_b128 v151, v[86:89]
	;; [unrolled: 1-line block ×3, first 2 shown]
	v_pk_fma_f32 v[192:193], v[78:79], 2.0, v[194:195] op_sel_hi:[1,0,1] neg_lo:[0,0,1] neg_hi:[0,0,1]
	v_pk_fma_f32 v[72:73], v[72:73], 2.0, v[74:75] op_sel_hi:[1,0,1] neg_lo:[0,0,1] neg_hi:[0,0,1]
	ds_write_b128 v186, v[192:195]
	ds_write_b128 v153, v[72:75]
	s_and_saveexec_b64 s[0:1], s[6:7]
	s_cbranch_execz .LBB0_29
; %bb.28:
	ds_write_b128 v150, v[68:71]
.LBB0_29:
	s_or_b64 exec, exec, s[0:1]
	v_add_u32_e32 v76, 0x1c00, v102
	s_waitcnt lgkmcnt(0)
	s_barrier
	ds_read2_b64 v[96:99], v76 offset0:56 offset1:168
	v_add_u32_e32 v76, 0x400, v102
	ds_read2_b64 v[88:91], v76 offset0:96 offset1:208
	v_add_u32_e32 v76, 0x2400, v102
	;; [unrolled: 2-line block ×3, first 2 shown]
	v_add_u32_e32 v72, 0x1400, v102
	ds_read2_b64 v[80:83], v76 offset0:64 offset1:176
	v_add_u32_e32 v76, 0x2800, v102
	ds_read2_b64 v[92:95], v102 offset1:112
	ds_read2_b64 v[72:75], v72 offset0:32 offset1:200
	ds_read2_b64 v[76:79], v76 offset0:120 offset1:232
	v_mov_b32_e32 v150, v136
	v_mov_b32_e32 v151, v136
	;; [unrolled: 1-line block ×4, first 2 shown]
	s_and_saveexec_b64 s[0:1], s[6:7]
	s_cbranch_execz .LBB0_31
; %bb.30:
	ds_read_b64 v[68:69], v102 offset:6272
	ds_read_b64 v[70:71], v102 offset:12992
.LBB0_31:
	s_or_b64 exec, exec, s[0:1]
	s_waitcnt lgkmcnt(0)
	v_pk_mul_f32 v[148:149], v[136:137], v[70:71] op_sel:[0,1]
	s_nop 0
	v_pk_fma_f32 v[186:187], v[136:137], v[70:71], v[148:149] op_sel:[0,0,1] op_sel_hi:[1,1,0]
	v_pk_fma_f32 v[70:71], v[136:137], v[70:71], v[148:149] op_sel:[0,0,1] op_sel_hi:[1,0,0] neg_lo:[1,0,0] neg_hi:[1,0,0]
	s_barrier
	v_mov_b32_e32 v187, v71
	v_pk_add_f32 v[136:137], v[68:69], v[186:187] neg_lo:[0,1] neg_hi:[0,1]
	s_nop 0
	v_pk_fma_f32 v[148:149], v[68:69], 2.0, v[136:137] op_sel_hi:[1,0,1] neg_lo:[0,0,1] neg_hi:[0,0,1]
	v_pk_mul_f32 v[68:69], v[152:153], v[74:75]
	s_nop 0
	v_pk_fma_f32 v[70:71], v[150:151], v[74:75], v[68:69] op_sel:[0,0,1] op_sel_hi:[1,1,0]
	v_pk_fma_f32 v[68:69], v[150:151], v[74:75], v[68:69] op_sel:[0,0,1] op_sel_hi:[1,1,0] neg_lo:[0,0,1] neg_hi:[0,0,1]
	s_nop 0
	v_mov_b32_e32 v71, v69
	v_pk_add_f32 v[68:69], v[92:93], v[70:71] neg_lo:[0,1] neg_hi:[0,1]
	s_nop 0
	v_pk_fma_f32 v[70:71], v[92:93], 2.0, v[68:69] op_sel_hi:[1,0,1] neg_lo:[0,0,1] neg_hi:[0,0,1]
	ds_write2_b64 v161, v[70:71], v[68:69] offset1:2
	v_pk_mul_f32 v[68:69], v[152:153], v[96:97]
	s_nop 0
	v_pk_fma_f32 v[70:71], v[150:151], v[96:97], v[68:69] op_sel:[0,0,1] op_sel_hi:[1,1,0]
	v_pk_fma_f32 v[68:69], v[150:151], v[96:97], v[68:69] op_sel:[0,0,1] op_sel_hi:[1,1,0] neg_lo:[0,0,1] neg_hi:[0,0,1]
	s_nop 0
	v_mov_b32_e32 v71, v69
	v_pk_add_f32 v[68:69], v[94:95], v[70:71] neg_lo:[0,1] neg_hi:[0,1]
	s_nop 0
	v_pk_fma_f32 v[70:71], v[94:95], 2.0, v[68:69] op_sel_hi:[1,0,1] neg_lo:[0,0,1] neg_hi:[0,0,1]
	ds_write2_b64 v160, v[70:71], v[68:69] offset1:2
	;; [unrolled: 10-line block ×7, first 2 shown]
	s_and_saveexec_b64 s[0:1], s[6:7]
	s_cbranch_execz .LBB0_33
; %bb.32:
	s_movk_i32 s14, 0x6fc
	v_and_or_b32 v68, v103, s14, v117
	v_lshlrev_b32_e32 v68, 3, v68
	ds_write2_b64 v68, v[148:149], v[136:137] offset1:2
.LBB0_33:
	s_or_b64 exec, exec, s[0:1]
	v_add_u32_e32 v72, 0x1c00, v102
	s_waitcnt lgkmcnt(0)
	s_barrier
	ds_read2_b64 v[92:95], v72 offset0:56 offset1:168
	v_add_u32_e32 v72, 0x400, v102
	ds_read2_b64 v[84:87], v72 offset0:96 offset1:208
	v_add_u32_e32 v72, 0x2400, v102
	;; [unrolled: 2-line block ×3, first 2 shown]
	v_add_u32_e32 v68, 0x1400, v102
	ds_read2_b64 v[76:79], v72 offset0:64 offset1:176
	v_add_u32_e32 v72, 0x2800, v102
	ds_read2_b64 v[88:91], v102 offset1:112
	ds_read2_b64 v[68:71], v68 offset0:32 offset1:200
	ds_read2_b64 v[72:75], v72 offset0:120 offset1:232
	v_mov_b32_e32 v98, v138
	v_mov_b32_e32 v99, v138
	;; [unrolled: 1-line block ×4, first 2 shown]
	s_and_saveexec_b64 s[0:1], s[6:7]
	s_cbranch_execz .LBB0_35
; %bb.34:
	ds_read_b64 v[148:149], v102 offset:6272
	ds_read_b64 v[136:137], v102 offset:12992
.LBB0_35:
	s_or_b64 exec, exec, s[0:1]
	s_waitcnt lgkmcnt(0)
	v_pk_mul_f32 v[96:97], v[138:139], v[136:137] op_sel:[0,1]
	s_nop 0
	v_pk_fma_f32 v[152:153], v[138:139], v[136:137], v[96:97] op_sel:[0,0,1] op_sel_hi:[1,1,0]
	v_pk_fma_f32 v[96:97], v[138:139], v[136:137], v[96:97] op_sel:[0,0,1] op_sel_hi:[1,0,0] neg_lo:[1,0,0] neg_hi:[1,0,0]
	v_pk_mul_f32 v[138:139], v[150:151], v[70:71]
	v_mov_b32_e32 v153, v97
	v_pk_add_f32 v[136:137], v[148:149], v[152:153] neg_lo:[0,1] neg_hi:[0,1]
	s_barrier
	v_pk_fma_f32 v[96:97], v[148:149], 2.0, v[136:137] op_sel_hi:[1,0,1] neg_lo:[0,0,1] neg_hi:[0,0,1]
	v_pk_fma_f32 v[148:149], v[98:99], v[70:71], v[138:139] op_sel:[0,0,1] op_sel_hi:[1,1,0]
	v_pk_fma_f32 v[70:71], v[98:99], v[70:71], v[138:139] op_sel:[0,0,1] op_sel_hi:[1,1,0] neg_lo:[0,0,1] neg_hi:[0,0,1]
	s_nop 0
	v_mov_b32_e32 v149, v71
	v_pk_add_f32 v[70:71], v[88:89], v[148:149] neg_lo:[0,1] neg_hi:[0,1]
	s_nop 0
	v_pk_fma_f32 v[88:89], v[88:89], 2.0, v[70:71] op_sel_hi:[1,0,1] neg_lo:[0,0,1] neg_hi:[0,0,1]
	ds_write2_b64 v170, v[88:89], v[70:71] offset1:4
	v_pk_mul_f32 v[70:71], v[150:151], v[92:93]
	s_nop 0
	v_pk_fma_f32 v[88:89], v[98:99], v[92:93], v[70:71] op_sel:[0,0,1] op_sel_hi:[1,1,0]
	v_pk_fma_f32 v[70:71], v[98:99], v[92:93], v[70:71] op_sel:[0,0,1] op_sel_hi:[1,1,0] neg_lo:[0,0,1] neg_hi:[0,0,1]
	s_nop 0
	v_mov_b32_e32 v89, v71
	v_pk_add_f32 v[70:71], v[90:91], v[88:89] neg_lo:[0,1] neg_hi:[0,1]
	s_nop 0
	v_pk_fma_f32 v[88:89], v[90:91], 2.0, v[70:71] op_sel_hi:[1,0,1] neg_lo:[0,0,1] neg_hi:[0,0,1]
	ds_write2_b64 v169, v[88:89], v[70:71] offset1:4
	v_pk_mul_f32 v[70:71], v[150:151], v[94:95]
	s_nop 0
	;; [unrolled: 10-line block ×6, first 2 shown]
	v_pk_fma_f32 v[72:73], v[98:99], v[74:75], v[70:71] op_sel:[0,0,1] op_sel_hi:[1,1,0]
	v_pk_fma_f32 v[70:71], v[98:99], v[74:75], v[70:71] op_sel:[0,0,1] op_sel_hi:[1,1,0] neg_lo:[0,0,1] neg_hi:[0,0,1]
	s_nop 0
	v_mov_b32_e32 v73, v71
	v_pk_add_f32 v[70:71], v[68:69], v[72:73] neg_lo:[0,1] neg_hi:[0,1]
	s_nop 0
	v_pk_fma_f32 v[68:69], v[68:69], 2.0, v[70:71] op_sel_hi:[1,0,1] neg_lo:[0,0,1] neg_hi:[0,0,1]
	ds_write2_b64 v163, v[68:69], v[70:71] offset1:4
	s_and_saveexec_b64 s[0:1], s[6:7]
	s_cbranch_execz .LBB0_37
; %bb.36:
	s_movk_i32 s14, 0x6f8
	v_and_or_b32 v68, v103, s14, v154
	v_lshlrev_b32_e32 v68, 3, v68
	ds_write2_b64 v68, v[96:97], v[136:137] offset1:4
.LBB0_37:
	s_or_b64 exec, exec, s[0:1]
	v_add_u32_e32 v72, 0x1c00, v102
	s_waitcnt lgkmcnt(0)
	s_barrier
	ds_read2_b64 v[92:95], v72 offset0:56 offset1:168
	v_add_u32_e32 v72, 0x400, v102
	ds_read2_b64 v[84:87], v72 offset0:96 offset1:208
	v_add_u32_e32 v72, 0x2400, v102
	;; [unrolled: 2-line block ×3, first 2 shown]
	v_add_u32_e32 v68, 0x1400, v102
	ds_read2_b64 v[76:79], v72 offset0:64 offset1:176
	v_add_u32_e32 v72, 0x2800, v102
	ds_read2_b64 v[88:91], v102 offset1:112
	ds_read2_b64 v[68:71], v68 offset0:32 offset1:200
	ds_read2_b64 v[72:75], v72 offset0:120 offset1:232
	v_mov_b32_e32 v148, v144
	v_mov_b32_e32 v149, v144
	;; [unrolled: 1-line block ×4, first 2 shown]
	s_and_saveexec_b64 s[0:1], s[6:7]
	s_cbranch_execz .LBB0_39
; %bb.38:
	ds_read_b64 v[96:97], v102 offset:6272
	ds_read_b64 v[136:137], v102 offset:12992
.LBB0_39:
	s_or_b64 exec, exec, s[0:1]
	s_waitcnt lgkmcnt(0)
	v_pk_mul_f32 v[152:153], v[144:145], v[136:137] op_sel:[0,1]
	s_nop 0
	v_pk_fma_f32 v[154:155], v[144:145], v[136:137], v[152:153] op_sel:[0,0,1] op_sel_hi:[1,1,0]
	v_pk_fma_f32 v[136:137], v[144:145], v[136:137], v[152:153] op_sel:[0,0,1] op_sel_hi:[1,0,0] neg_lo:[1,0,0] neg_hi:[1,0,0]
	v_pk_mul_f32 v[144:145], v[150:151], v[70:71]
	s_barrier
	v_pk_fma_f32 v[152:153], v[148:149], v[70:71], v[144:145] op_sel:[0,0,1] op_sel_hi:[1,1,0]
	v_pk_fma_f32 v[70:71], v[148:149], v[70:71], v[144:145] op_sel:[0,0,1] op_sel_hi:[1,1,0] neg_lo:[0,0,1] neg_hi:[0,0,1]
	s_nop 0
	v_mov_b32_e32 v153, v71
	v_pk_add_f32 v[70:71], v[88:89], v[152:153] neg_lo:[0,1] neg_hi:[0,1]
	v_mov_b32_e32 v155, v137
	v_pk_fma_f32 v[88:89], v[88:89], 2.0, v[70:71] op_sel_hi:[1,0,1] neg_lo:[0,0,1] neg_hi:[0,0,1]
	ds_write2_b64 v180, v[88:89], v[70:71] offset1:8
	v_pk_mul_f32 v[70:71], v[150:151], v[92:93]
	v_mov_b32_e32 v138, v22
	v_pk_fma_f32 v[88:89], v[148:149], v[92:93], v[70:71] op_sel:[0,0,1] op_sel_hi:[1,1,0]
	v_pk_fma_f32 v[70:71], v[148:149], v[92:93], v[70:71] op_sel:[0,0,1] op_sel_hi:[1,1,0] neg_lo:[0,0,1] neg_hi:[0,0,1]
	v_mov_b32_e32 v139, v22
	v_mov_b32_e32 v89, v71
	v_pk_add_f32 v[70:71], v[90:91], v[88:89] neg_lo:[0,1] neg_hi:[0,1]
	v_mov_b32_e32 v22, v23
	v_pk_fma_f32 v[88:89], v[90:91], 2.0, v[70:71] op_sel_hi:[1,0,1] neg_lo:[0,0,1] neg_hi:[0,0,1]
	ds_write2_b64 v179, v[88:89], v[70:71] offset1:8
	v_pk_mul_f32 v[70:71], v[150:151], v[94:95]
	v_mov_b32_e32 v98, v24
	v_pk_fma_f32 v[88:89], v[148:149], v[94:95], v[70:71] op_sel:[0,0,1] op_sel_hi:[1,1,0]
	v_pk_fma_f32 v[70:71], v[148:149], v[94:95], v[70:71] op_sel:[0,0,1] op_sel_hi:[1,1,0] neg_lo:[0,0,1] neg_hi:[0,0,1]
	v_mov_b32_e32 v99, v24
	v_mov_b32_e32 v89, v71
	v_pk_add_f32 v[70:71], v[84:85], v[88:89] neg_lo:[0,1] neg_hi:[0,1]
	v_mov_b32_e32 v24, v25
	v_pk_fma_f32 v[84:85], v[84:85], 2.0, v[70:71] op_sel_hi:[1,0,1] neg_lo:[0,0,1] neg_hi:[0,0,1]
	ds_write2_b64 v177, v[84:85], v[70:71] offset1:8
	v_pk_mul_f32 v[70:71], v[150:151], v[80:81]
	v_pk_add_f32 v[136:137], v[96:97], v[154:155] neg_lo:[0,1] neg_hi:[0,1]
	v_pk_fma_f32 v[84:85], v[148:149], v[80:81], v[70:71] op_sel:[0,0,1] op_sel_hi:[1,1,0]
	v_pk_fma_f32 v[70:71], v[148:149], v[80:81], v[70:71] op_sel:[0,0,1] op_sel_hi:[1,1,0] neg_lo:[0,0,1] neg_hi:[0,0,1]
	s_nop 0
	v_mov_b32_e32 v85, v71
	v_pk_add_f32 v[70:71], v[86:87], v[84:85] neg_lo:[0,1] neg_hi:[0,1]
	s_nop 0
	v_pk_fma_f32 v[80:81], v[86:87], 2.0, v[70:71] op_sel_hi:[1,0,1] neg_lo:[0,0,1] neg_hi:[0,0,1]
	ds_write2_b64 v175, v[80:81], v[70:71] offset1:8
	v_pk_mul_f32 v[70:71], v[150:151], v[82:83]
	s_nop 0
	v_pk_fma_f32 v[80:81], v[148:149], v[82:83], v[70:71] op_sel:[0,0,1] op_sel_hi:[1,1,0]
	v_pk_fma_f32 v[70:71], v[148:149], v[82:83], v[70:71] op_sel:[0,0,1] op_sel_hi:[1,1,0] neg_lo:[0,0,1] neg_hi:[0,0,1]
	s_nop 0
	v_mov_b32_e32 v81, v71
	v_pk_add_f32 v[70:71], v[76:77], v[80:81] neg_lo:[0,1] neg_hi:[0,1]
	s_nop 0
	v_pk_fma_f32 v[76:77], v[76:77], 2.0, v[70:71] op_sel_hi:[1,0,1] neg_lo:[0,0,1] neg_hi:[0,0,1]
	ds_write2_b64 v174, v[76:77], v[70:71] offset1:8
	v_pk_mul_f32 v[70:71], v[150:151], v[72:73]
	s_nop 0
	;; [unrolled: 10-line block ×3, first 2 shown]
	v_pk_fma_f32 v[72:73], v[148:149], v[74:75], v[70:71] op_sel:[0,0,1] op_sel_hi:[1,1,0]
	v_pk_fma_f32 v[70:71], v[148:149], v[74:75], v[70:71] op_sel:[0,0,1] op_sel_hi:[1,1,0] neg_lo:[0,0,1] neg_hi:[0,0,1]
	s_nop 0
	v_mov_b32_e32 v73, v71
	v_pk_add_f32 v[70:71], v[68:69], v[72:73] neg_lo:[0,1] neg_hi:[0,1]
	s_nop 0
	v_pk_fma_f32 v[68:69], v[68:69], 2.0, v[70:71] op_sel_hi:[1,0,1] neg_lo:[0,0,1] neg_hi:[0,0,1]
	ds_write2_b64 v171, v[68:69], v[70:71] offset1:8
	s_and_saveexec_b64 s[0:1], s[6:7]
	s_cbranch_execz .LBB0_41
; %bb.40:
	s_movk_i32 s14, 0x6f0
	v_and_or_b32 v68, v103, s14, v162
	v_lshlrev_b32_e32 v70, 3, v68
	v_pk_fma_f32 v[68:69], v[96:97], 2.0, v[136:137] op_sel_hi:[1,0,1] neg_lo:[0,0,1] neg_hi:[0,0,1]
	ds_write2_b64 v70, v[68:69], v[136:137] offset1:8
.LBB0_41:
	s_or_b64 exec, exec, s[0:1]
	v_add_u32_e32 v68, 0x1800, v102
	s_waitcnt lgkmcnt(0)
	s_barrier
	ds_read2_b64 v[70:73], v68 offset0:128 offset1:240
	ds_read_b64 v[68:69], v102 offset:12544
	v_add_u32_e32 v103, 0xc00, v102
	ds_read2_b64 v[74:77], v103 offset0:64 offset1:176
	s_mov_b32 s0, 0x3f5db3d7
	s_waitcnt lgkmcnt(2)
	v_pk_mul_f32 v[78:79], v[22:23], v[72:73]
	v_add_u32_e32 v117, 0x1400, v102
	v_pk_fma_f32 v[90:91], v[138:139], v[72:73], v[78:79] op_sel:[0,0,1] op_sel_hi:[1,1,0]
	v_pk_fma_f32 v[72:73], v[138:139], v[72:73], v[78:79] op_sel:[0,0,1] op_sel_hi:[1,1,0] neg_lo:[0,0,1] neg_hi:[0,0,1]
                                        ; implicit-def: $vgpr160_vgpr161
	s_nop 0
	v_mov_b32_e32 v91, v73
	s_waitcnt lgkmcnt(1)
	v_pk_mul_f32 v[72:73], v[24:25], v[68:69]
	s_nop 0
	v_pk_fma_f32 v[92:93], v[98:99], v[68:69], v[72:73] op_sel:[0,0,1] op_sel_hi:[1,1,0]
	v_pk_fma_f32 v[68:69], v[98:99], v[68:69], v[72:73] op_sel:[0,0,1] op_sel_hi:[1,1,0] neg_lo:[0,0,1] neg_hi:[0,0,1]
	s_nop 0
	v_mov_b32_e32 v93, v69
	v_pk_add_f32 v[68:69], v[90:91], v[92:93]
	v_pk_add_f32 v[72:73], v[90:91], v[92:93] neg_lo:[0,1] neg_hi:[0,1]
	s_waitcnt lgkmcnt(0)
	v_pk_fma_f32 v[68:69], v[68:69], 0.5, v[74:75] op_sel_hi:[1,0,1] neg_lo:[1,0,0] neg_hi:[1,0,0]
	v_pk_mul_f32 v[72:73], v[72:73], s[0:1] op_sel_hi:[1,0]
	s_nop 0
	v_pk_add_f32 v[94:95], v[68:69], v[72:73] op_sel:[0,1] op_sel_hi:[1,0]
	v_pk_add_f32 v[96:97], v[68:69], v[72:73] op_sel:[0,1] op_sel_hi:[1,0] neg_lo:[0,1] neg_hi:[0,1]
	v_add_u32_e32 v72, 0x2800, v102
	ds_read2_b64 v[82:85], v72 offset0:64 offset1:176
	v_mov_b32_e32 v68, v94
	v_add_u32_e32 v94, 0x400, v102
	v_pk_mul_f32 v[72:73], v[22:23], v[70:71]
	ds_read2_b64 v[78:81], v94 offset0:96 offset1:208
	v_pk_fma_f32 v[144:145], v[138:139], v[70:71], v[72:73] op_sel:[0,0,1] op_sel_hi:[1,1,0]
	v_pk_fma_f32 v[70:71], v[138:139], v[70:71], v[72:73] op_sel:[0,0,1] op_sel_hi:[1,1,0] neg_lo:[0,0,1] neg_hi:[0,0,1]
	s_waitcnt lgkmcnt(1)
	v_pk_mul_f32 v[86:87], v[24:25], v[84:85]
	v_mov_b32_e32 v145, v71
	ds_read2_b64 v[70:73], v117 offset0:32 offset1:144
	v_pk_fma_f32 v[148:149], v[98:99], v[84:85], v[86:87] op_sel:[0,0,1] op_sel_hi:[1,1,0]
	v_pk_fma_f32 v[84:85], v[98:99], v[84:85], v[86:87] op_sel:[0,0,1] op_sel_hi:[1,1,0] neg_lo:[0,0,1] neg_hi:[0,0,1]
	v_add_u32_e32 v86, 0x2000, v102
	v_mov_b32_e32 v149, v85
	s_waitcnt lgkmcnt(1)
	v_pk_add_f32 v[84:85], v[80:81], v[144:145]
	ds_read2_b64 v[86:89], v86 offset0:96 offset1:208
	v_pk_add_f32 v[150:151], v[84:85], v[148:149]
	s_waitcnt lgkmcnt(1)
	v_pk_mul_f32 v[84:85], v[22:23], v[72:73]
	v_pk_mul_f32 v[156:157], v[22:23], v[70:71]
	v_pk_fma_f32 v[152:153], v[138:139], v[72:73], v[84:85] op_sel:[0,0,1] op_sel_hi:[1,1,0]
	v_pk_fma_f32 v[72:73], v[138:139], v[72:73], v[84:85] op_sel:[0,0,1] op_sel_hi:[1,1,0] neg_lo:[0,0,1] neg_hi:[0,0,1]
	v_pk_fma_f32 v[158:159], v[138:139], v[70:71], v[156:157] op_sel:[0,0,1] op_sel_hi:[1,1,0]
	v_mov_b32_e32 v153, v73
	v_pk_mul_f32 v[72:73], v[24:25], v[82:83]
	v_pk_fma_f32 v[70:71], v[138:139], v[70:71], v[156:157] op_sel:[0,0,1] op_sel_hi:[1,1,0] neg_lo:[0,0,1] neg_hi:[0,0,1]
	v_pk_fma_f32 v[154:155], v[98:99], v[82:83], v[72:73] op_sel:[0,0,1] op_sel_hi:[1,1,0]
	v_pk_fma_f32 v[72:73], v[98:99], v[82:83], v[72:73] op_sel:[0,0,1] op_sel_hi:[1,1,0] neg_lo:[0,0,1] neg_hi:[0,0,1]
	ds_read2_b64 v[82:85], v102 offset1:112
	v_mov_b32_e32 v159, v71
	s_waitcnt lgkmcnt(1)
	v_pk_mul_f32 v[70:71], v[24:25], v[88:89]
	v_pk_mul_f32 v[22:23], v[22:23], v[76:77]
	v_pk_fma_f32 v[156:157], v[98:99], v[88:89], v[70:71] op_sel:[0,0,1] op_sel_hi:[1,1,0]
	v_pk_fma_f32 v[70:71], v[98:99], v[88:89], v[70:71] op_sel:[0,0,1] op_sel_hi:[1,1,0] neg_lo:[0,0,1] neg_hi:[0,0,1]
	v_pk_fma_f32 v[88:89], v[138:139], v[76:77], v[22:23] op_sel:[0,0,1] op_sel_hi:[1,1,0]
	v_pk_fma_f32 v[22:23], v[138:139], v[76:77], v[22:23] op_sel:[0,0,1] op_sel_hi:[1,1,0] neg_lo:[0,0,1] neg_hi:[0,0,1]
	v_mov_b32_e32 v157, v71
	v_mov_b32_e32 v89, v23
	v_pk_mul_f32 v[22:23], v[24:25], v[86:87]
	s_waitcnt lgkmcnt(0)
	v_pk_fma_f32 v[24:25], v[98:99], v[86:87], v[22:23] op_sel:[0,0,1] op_sel_hi:[1,1,0]
	v_pk_fma_f32 v[22:23], v[98:99], v[86:87], v[22:23] op_sel:[0,0,1] op_sel_hi:[1,1,0] neg_lo:[0,0,1] neg_hi:[0,0,1]
	s_barrier
	v_mov_b32_e32 v25, v23
	v_pk_add_f32 v[22:23], v[82:83], v[88:89]
	v_pk_add_f32 v[76:77], v[88:89], v[24:25]
	;; [unrolled: 1-line block ×3, first 2 shown]
	v_pk_add_f32 v[24:25], v[88:89], v[24:25] neg_lo:[0,1] neg_hi:[0,1]
	v_pk_fma_f32 v[76:77], v[76:77], 0.5, v[82:83] op_sel_hi:[1,0,1] neg_lo:[1,0,0] neg_hi:[1,0,0]
	v_pk_mul_f32 v[24:25], v[24:25], s[0:1] op_sel_hi:[1,0]
	s_nop 0
	v_pk_add_f32 v[82:83], v[76:77], v[24:25] op_sel:[0,1] op_sel_hi:[1,0] neg_lo:[0,1] neg_hi:[0,1]
	v_pk_add_f32 v[24:25], v[76:77], v[24:25] op_sel:[0,1] op_sel_hi:[1,0]
	v_mov_b32_e32 v76, v82
	v_mov_b32_e32 v77, v25
	v_mov_b32_e32 v25, v83
	ds_write2_b64 v181, v[22:23], v[76:77] offset1:16
	ds_write_b64 v181, v[24:25] offset:256
	v_pk_add_f32 v[22:23], v[158:159], v[156:157]
	v_pk_add_f32 v[24:25], v[158:159], v[156:157] neg_lo:[0,1] neg_hi:[0,1]
	v_pk_fma_f32 v[22:23], v[22:23], 0.5, v[84:85] op_sel_hi:[1,0,1] neg_lo:[1,0,0] neg_hi:[1,0,0]
	v_pk_mul_f32 v[24:25], v[24:25], s[0:1] op_sel_hi:[1,0]
	v_pk_add_f32 v[70:71], v[84:85], v[158:159]
	v_pk_add_f32 v[76:77], v[22:23], v[24:25] op_sel:[0,1] op_sel_hi:[1,0] neg_lo:[0,1] neg_hi:[0,1]
	v_pk_add_f32 v[22:23], v[22:23], v[24:25] op_sel:[0,1] op_sel_hi:[1,0]
	v_mov_b32_e32 v155, v73
	v_pk_add_f32 v[70:71], v[70:71], v[156:157]
	v_mov_b32_e32 v24, v76
	v_mov_b32_e32 v25, v23
	;; [unrolled: 1-line block ×3, first 2 shown]
	ds_write2_b64 v178, v[70:71], v[24:25] offset1:16
	ds_write_b64 v178, v[22:23] offset:256
	v_pk_add_f32 v[22:23], v[152:153], v[154:155]
	v_pk_add_f32 v[24:25], v[152:153], v[154:155] neg_lo:[0,1] neg_hi:[0,1]
	v_pk_fma_f32 v[22:23], v[22:23], 0.5, v[78:79] op_sel_hi:[1,0,1] neg_lo:[1,0,0] neg_hi:[1,0,0]
	v_pk_mul_f32 v[24:25], v[24:25], s[0:1] op_sel_hi:[1,0]
	v_pk_add_f32 v[72:73], v[78:79], v[152:153]
	v_pk_add_f32 v[70:71], v[22:23], v[24:25] op_sel:[0,1] op_sel_hi:[1,0] neg_lo:[0,1] neg_hi:[0,1]
	v_pk_add_f32 v[22:23], v[22:23], v[24:25] op_sel:[0,1] op_sel_hi:[1,0]
	v_pk_add_f32 v[72:73], v[72:73], v[154:155]
	v_mov_b32_e32 v24, v70
	v_mov_b32_e32 v25, v23
	;; [unrolled: 1-line block ×3, first 2 shown]
	ds_write2_b64 v176, v[72:73], v[24:25] offset1:16
	ds_write_b64 v176, v[22:23] offset:256
	v_pk_add_f32 v[22:23], v[144:145], v[148:149]
	v_pk_add_f32 v[24:25], v[144:145], v[148:149] neg_lo:[0,1] neg_hi:[0,1]
	v_pk_fma_f32 v[22:23], v[22:23], 0.5, v[80:81] op_sel_hi:[1,0,1] neg_lo:[1,0,0] neg_hi:[1,0,0]
	v_pk_mul_f32 v[24:25], v[24:25], s[0:1] op_sel_hi:[1,0]
	v_mov_b32_e32 v69, v97
	v_pk_add_f32 v[70:71], v[22:23], v[24:25] op_sel:[0,1] op_sel_hi:[1,0] neg_lo:[0,1] neg_hi:[0,1]
	v_pk_add_f32 v[22:23], v[22:23], v[24:25] op_sel:[0,1] op_sel_hi:[1,0]
	v_mov_b32_e32 v24, v70
	v_mov_b32_e32 v25, v23
	;; [unrolled: 1-line block ×3, first 2 shown]
	ds_write_b64 v173, v[22:23] offset:256
	v_pk_add_f32 v[22:23], v[74:75], v[90:91]
	v_mov_b32_e32 v97, v95
	v_pk_add_f32 v[22:23], v[22:23], v[92:93]
	ds_write2_b64 v173, v[150:151], v[24:25] offset1:16
	ds_write2_b64 v183, v[22:23], v[96:97] offset1:16
	ds_write_b64 v183, v[68:69] offset:256
	v_add_u32_e32 v22, 0x1c00, v102
	s_waitcnt lgkmcnt(0)
	s_barrier
	ds_read2_b64 v[72:75], v102 offset1:112
	ds_read2_b64 v[80:83], v94 offset0:112 offset1:224
	ds_read2_b64 v[76:79], v103 offset0:96 offset1:208
	;; [unrolled: 1-line block ×4, first 2 shown]
	v_add_u32_e32 v22, 0x2400, v102
	ds_read2_b64 v[84:87], v22 offset0:48 offset1:160
	v_add_u32_e32 v22, 0x2c00, v102
	ds_read2_b64 v[88:91], v22 offset0:32 offset1:144
                                        ; implicit-def: $vgpr158_vgpr159
	s_and_saveexec_b64 s[0:1], s[4:5]
	s_xor_b64 s[0:1], exec, s[0:1]
; %bb.42:
	v_mov_b32_e32 v158, v136
	v_mov_b32_e32 v159, v147
	;; [unrolled: 1-line block ×4, first 2 shown]
; %bb.43:
	s_andn2_saveexec_b64 s[0:1], s[0:1]
	s_cbranch_execz .LBB0_45
; %bb.44:
	v_add_u32_e32 v24, 0x700, v102
	v_add_u32_e32 v20, 0x1600, v102
	ds_read_b64 v[136:137], v102 offset:13312
	ds_read2_b64 v[20:23], v20 offset1:240
	ds_read2_b64 v[68:71], v24 offset1:240
	v_add_u32_e32 v24, 0x2500, v102
	ds_read2_b64 v[24:27], v24 offset1:240
	s_waitcnt lgkmcnt(3)
	v_mov_b32_e32 v140, v136
	s_waitcnt lgkmcnt(2)
	v_mov_b32_e32 v141, v23
	v_mov_b32_e32 v142, v137
	;; [unrolled: 1-line block ×3, first 2 shown]
	s_waitcnt lgkmcnt(1)
	v_mov_b32_e32 v158, v70
	s_waitcnt lgkmcnt(0)
	v_mov_b32_e32 v159, v25
	v_mov_b32_e32 v160, v71
	;; [unrolled: 1-line block ×3, first 2 shown]
.LBB0_45:
	s_or_b64 exec, exec, s[0:1]
	s_waitcnt lgkmcnt(3)
	v_pk_mul_f32 v[174:175], v[36:37], v[96:97] op_sel:[0,1] op_sel_hi:[1,0]
	v_pk_mul_f32 v[162:163], v[28:29], v[80:81] op_sel_hi:[1,0]
	v_mov_b32_e32 v164, v81
	v_mov_b32_e32 v174, v175
	s_waitcnt lgkmcnt(2)
	v_pk_mul_f32 v[176:177], v[38:39], v[92:93] op_sel:[0,1] op_sel_hi:[1,0]
	v_pk_mul_f32 v[166:167], v[30:31], v[76:77] op_sel_hi:[1,0]
	v_mov_b32_e32 v168, v77
	v_pk_mul_f32 v[170:171], v[36:37], v[96:97]
	v_mov_b32_e32 v172, v37
	v_pk_fma_f32 v[36:37], v[36:37], v[96:97], v[174:175] op_sel:[0,1,0] op_sel_hi:[1,0,1] neg_lo:[0,0,1] neg_hi:[0,0,1]
	v_mov_b32_e32 v174, v39
	v_mov_b32_e32 v176, v177
	v_pk_fma_f32 v[164:165], v[28:29], v[164:165], v[162:163] op_sel:[0,0,1] op_sel_hi:[1,1,0] neg_lo:[0,0,1] neg_hi:[0,0,1]
	v_pk_fma_f32 v[28:29], v[28:29], v[80:81], v[162:163] op_sel:[0,1,1] op_sel_hi:[1,1,0]
	v_pk_mul_f32 v[172:173], v[172:173], v[96:97] op_sel:[0,1] op_sel_hi:[1,0]
	v_pk_mul_f32 v[96:97], v[38:39], v[92:93]
	v_pk_mul_f32 v[174:175], v[174:175], v[92:93] op_sel:[0,1] op_sel_hi:[1,0]
	v_pk_fma_f32 v[38:39], v[38:39], v[92:93], v[176:177] op_sel:[0,1,0] op_sel_hi:[1,0,1] neg_lo:[0,0,1] neg_hi:[0,0,1]
	s_waitcnt lgkmcnt(1)
	v_pk_mul_f32 v[92:93], v[32:33], v[84:85] op_sel_hi:[1,0]
	v_mov_b32_e32 v176, v85
	v_mov_b32_e32 v165, v29
	v_pk_fma_f32 v[28:29], v[30:31], v[168:169], v[166:167] op_sel:[0,0,1] op_sel_hi:[1,1,0] neg_lo:[0,0,1] neg_hi:[0,0,1]
	v_pk_fma_f32 v[30:31], v[30:31], v[76:77], v[166:167] op_sel:[0,1,1] op_sel_hi:[1,1,0]
	s_waitcnt lgkmcnt(0)
	v_pk_mul_f32 v[178:179], v[34:35], v[88:89] op_sel_hi:[1,0]
	v_mov_b32_e32 v180, v89
	v_mov_b32_e32 v29, v31
	v_pk_fma_f32 v[30:31], v[32:33], v[176:177], v[92:93] op_sel:[0,0,1] op_sel_hi:[1,1,0] neg_lo:[0,0,1] neg_hi:[0,0,1]
	v_pk_fma_f32 v[32:33], v[32:33], v[84:85], v[92:93] op_sel:[0,1,1] op_sel_hi:[1,1,0]
	v_mov_b32_e32 v97, v164
	v_mov_b32_e32 v31, v33
	v_pk_fma_f32 v[32:33], v[34:35], v[180:181], v[178:179] op_sel:[0,0,1] op_sel_hi:[1,1,0] neg_lo:[0,0,1] neg_hi:[0,0,1]
	v_pk_fma_f32 v[34:35], v[34:35], v[88:89], v[178:179] op_sel:[0,1,1] op_sel_hi:[1,1,0]
	v_mov_b32_e32 v175, v32
	v_mov_b32_e32 v33, v35
	v_mov_b32_e32 v171, v28
	v_mov_b32_e32 v173, v30
	v_pk_add_f32 v[34:35], v[164:165], v[32:33]
	v_pk_add_f32 v[76:77], v[164:165], v[32:33] neg_lo:[0,1] neg_hi:[0,1]
	v_pk_add_f32 v[80:81], v[28:29], v[30:31]
	v_pk_add_f32 v[84:85], v[28:29], v[30:31] neg_lo:[0,1] neg_hi:[0,1]
	v_pk_add_f32 v[32:33], v[96:97], v[174:175]
	v_pk_add_f32 v[28:29], v[170:171], v[172:173]
	v_mov_b32_e32 v39, v32
	v_mov_b32_e32 v37, v28
	v_pk_add_f32 v[30:31], v[38:39], v[36:37] neg_lo:[0,1] neg_hi:[0,1]
	v_mov_b32_e32 v162, v81
	v_mov_b32_e32 v163, v36
	;; [unrolled: 1-line block ×4, first 2 shown]
	v_pk_add_f32 v[36:37], v[162:163], v[36:37]
	v_pk_add_f32 v[38:39], v[28:29], v[32:33]
	v_mov_b32_e32 v88, v30
	v_mov_b32_e32 v89, v77
	;; [unrolled: 1-line block ×4, first 2 shown]
	s_mov_b32 s4, 0x3f08b237
	v_mov_b32_e32 v32, v38
	v_mov_b32_e32 v163, v37
	s_mov_b32 s20, 0x3d64c772
	v_pk_add_f32 v[88:89], v[88:89], v[92:93] neg_lo:[0,1] neg_hi:[0,1]
	s_mov_b32 s5, 0xbeae86e6
	v_mov_b32_e32 v92, v76
	v_mov_b32_e32 v96, v30
	;; [unrolled: 1-line block ×3, first 2 shown]
	v_pk_add_f32 v[162:163], v[32:33], v[162:163] neg_lo:[0,1] neg_hi:[0,1]
	v_mov_b32_e32 v164, v35
	v_mov_b32_e32 v165, v37
	;; [unrolled: 1-line block ×3, first 2 shown]
	v_pk_add_f32 v[36:37], v[36:37], v[38:39]
	s_mov_b32 s21, 0x3f4a47b2
	v_pk_mul_f32 v[88:89], v[88:89], s[4:5]
	v_pk_add_f32 v[92:93], v[92:93], v[96:97] neg_lo:[0,1] neg_hi:[0,1]
	s_mov_b32 s14, s5
	s_mov_b32 s15, s4
	v_pk_add_f32 v[30:31], v[30:31], v[84:85]
	v_pk_add_f32 v[164:165], v[164:165], v[28:29] neg_lo:[0,1] neg_hi:[0,1]
	v_pk_add_f32 v[38:39], v[72:73], v[36:37]
	s_mov_b32 s24, 0x3f955555
	v_pk_mul_f32 v[72:73], v[162:163], s[20:21]
	s_mov_b32 s22, s21
	s_mov_b32 s23, s20
	v_pk_mul_f32 v[96:97], v[92:93], s[14:15]
	v_pk_add_f32 v[30:31], v[30:31], v[76:77]
	s_mov_b32 s0, 0xbee1c552
	v_pk_mul_f32 v[162:163], v[164:165], s[22:23]
	v_pk_fma_f32 v[36:37], v[36:37], s[24:25], v[38:39] op_sel_hi:[1,0,1] neg_lo:[1,0,0] neg_hi:[1,0,0]
	v_pk_fma_f32 v[164:165], v[164:165], s[22:23], v[72:73]
	v_pk_fma_f32 v[92:93], v[92:93], s[14:15], v[88:89]
	v_pk_add_f32 v[164:165], v[164:165], v[36:37]
	v_pk_fma_f32 v[92:93], v[30:31], s[0:1], v[92:93] op_sel_hi:[1,0,1]
	v_mov_b32_e32 v28, v81
	v_pk_add_f32 v[166:167], v[164:165], v[92:93]
	v_pk_add_f32 v[92:93], v[164:165], v[92:93] neg_lo:[0,1] neg_hi:[0,1]
	v_mov_b32_e32 v164, v166
	v_mov_b32_e32 v165, v93
	;; [unrolled: 1-line block ×3, first 2 shown]
	s_barrier
	ds_write2_b64 v184, v[38:39], v[164:165] offset1:48
	v_pk_add_f32 v[38:39], v[84:85], v[76:77] neg_lo:[0,1] neg_hi:[0,1]
	s_mov_b32 s16, 0xbf5ff5aa
	v_pk_add_f32 v[28:29], v[28:29], v[32:33] neg_lo:[0,1] neg_hi:[0,1]
	s_mov_b32 s18, 0x3f3bfb3b
	v_mov_b32_e32 v32, v162
	v_mov_b32_e32 v33, v73
	;; [unrolled: 1-line block ×6, first 2 shown]
	v_pk_fma_f32 v[32:33], v[28:29], s[18:19], v[32:33] op_sel_hi:[1,0,1] neg_lo:[1,0,1] neg_hi:[1,0,1]
	v_pk_fma_f32 v[34:35], v[38:39], s[16:17], v[34:35] op_sel_hi:[1,0,1] neg_lo:[1,0,1] neg_hi:[1,0,1]
	;; [unrolled: 1-line block ×4, first 2 shown]
	v_pk_add_f32 v[32:33], v[32:33], v[36:37]
	v_pk_fma_f32 v[34:35], v[30:31], s[0:1], v[34:35] op_sel_hi:[1,0,1]
	v_pk_add_f32 v[28:29], v[28:29], v[36:37]
	v_pk_fma_f32 v[30:31], v[30:31], s[0:1], v[38:39] op_sel_hi:[1,0,1]
	v_pk_mul_f32 v[198:199], v[40:41], v[98:99] op_sel:[0,1] op_sel_hi:[1,0]
	v_pk_add_f32 v[76:77], v[32:33], v[34:35]
	v_pk_add_f32 v[32:33], v[32:33], v[34:35] neg_lo:[0,1] neg_hi:[0,1]
	v_pk_add_f32 v[36:37], v[28:29], v[30:31] neg_lo:[0,1] neg_hi:[0,1]
	v_pk_add_f32 v[28:29], v[28:29], v[30:31]
	v_pk_mul_f32 v[186:187], v[16:17], v[82:83] op_sel_hi:[1,0]
	v_mov_b32_e32 v188, v83
	v_mov_b32_e32 v198, v199
	v_pk_mul_f32 v[200:201], v[42:43], v[94:95] op_sel:[0,1] op_sel_hi:[1,0]
	v_mov_b32_e32 v35, v33
	v_mov_b32_e32 v31, v29
	;; [unrolled: 1-line block ×4, first 2 shown]
	v_pk_mul_f32 v[190:191], v[18:19], v[78:79] op_sel_hi:[1,0]
	v_mov_b32_e32 v192, v79
	v_pk_mul_f32 v[194:195], v[40:41], v[98:99]
	v_mov_b32_e32 v196, v41
	v_pk_fma_f32 v[40:41], v[40:41], v[98:99], v[198:199] op_sel:[0,1,0] op_sel_hi:[1,0,1] neg_lo:[0,0,1] neg_hi:[0,0,1]
	v_mov_b32_e32 v198, v43
	v_mov_b32_e32 v200, v201
	ds_write2_b64 v184, v[28:29], v[32:33] offset0:192 offset1:240
	v_pk_fma_f32 v[28:29], v[16:17], v[188:189], v[186:187] op_sel:[0,0,1] op_sel_hi:[1,1,0] neg_lo:[0,0,1] neg_hi:[0,0,1]
	v_pk_fma_f32 v[16:17], v[16:17], v[82:83], v[186:187] op_sel:[0,1,1] op_sel_hi:[1,1,0]
	v_pk_mul_f32 v[196:197], v[196:197], v[98:99] op_sel:[0,1] op_sel_hi:[1,0]
	v_pk_mul_f32 v[98:99], v[42:43], v[94:95]
	v_pk_mul_f32 v[198:199], v[198:199], v[94:95] op_sel:[0,1] op_sel_hi:[1,0]
	v_pk_fma_f32 v[42:43], v[42:43], v[94:95], v[200:201] op_sel:[0,1,0] op_sel_hi:[1,0,1] neg_lo:[0,0,1] neg_hi:[0,0,1]
	v_pk_mul_f32 v[94:95], v[12:13], v[86:87] op_sel_hi:[1,0]
	v_mov_b32_e32 v200, v87
	v_mov_b32_e32 v29, v17
	v_pk_fma_f32 v[16:17], v[18:19], v[192:193], v[190:191] op_sel:[0,0,1] op_sel_hi:[1,1,0] neg_lo:[0,0,1] neg_hi:[0,0,1]
	v_pk_fma_f32 v[18:19], v[18:19], v[78:79], v[190:191] op_sel:[0,1,1] op_sel_hi:[1,1,0]
	v_pk_mul_f32 v[202:203], v[14:15], v[90:91] op_sel_hi:[1,0]
	v_mov_b32_e32 v204, v91
	v_mov_b32_e32 v17, v19
	v_pk_fma_f32 v[18:19], v[12:13], v[200:201], v[94:95] op_sel:[0,0,1] op_sel_hi:[1,1,0] neg_lo:[0,0,1] neg_hi:[0,0,1]
	v_pk_fma_f32 v[12:13], v[12:13], v[86:87], v[94:95] op_sel:[0,1,1] op_sel_hi:[1,1,0]
	v_mov_b32_e32 v34, v76
	v_mov_b32_e32 v19, v13
	v_pk_fma_f32 v[12:13], v[14:15], v[204:205], v[202:203] op_sel:[0,0,1] op_sel_hi:[1,1,0] neg_lo:[0,0,1] neg_hi:[0,0,1]
	v_pk_fma_f32 v[14:15], v[14:15], v[90:91], v[202:203] op_sel:[0,1,1] op_sel_hi:[1,1,0]
	v_mov_b32_e32 v30, v36
	v_mov_b32_e32 v13, v15
	;; [unrolled: 1-line block ×6, first 2 shown]
	ds_write2_b64 v184, v[34:35], v[30:31] offset0:96 offset1:144
	v_pk_add_f32 v[14:15], v[28:29], v[12:13]
	v_pk_add_f32 v[30:31], v[28:29], v[12:13] neg_lo:[0,1] neg_hi:[0,1]
	v_pk_add_f32 v[32:33], v[16:17], v[18:19]
	v_pk_add_f32 v[34:35], v[16:17], v[18:19] neg_lo:[0,1] neg_hi:[0,1]
	v_pk_add_f32 v[12:13], v[98:99], v[198:199]
	v_pk_add_f32 v[16:17], v[194:195], v[196:197]
	v_mov_b32_e32 v43, v12
	v_mov_b32_e32 v41, v16
	v_pk_add_f32 v[18:19], v[42:43], v[40:41] neg_lo:[0,1] neg_hi:[0,1]
	v_mov_b32_e32 v72, v33
	v_mov_b32_e32 v73, v40
	;; [unrolled: 1-line block ×8, first 2 shown]
	v_pk_add_f32 v[40:41], v[72:73], v[40:41]
	v_pk_add_f32 v[42:43], v[16:17], v[12:13]
	v_pk_add_f32 v[28:29], v[28:29], v[36:37] neg_lo:[0,1] neg_hi:[0,1]
	v_mov_b32_e32 v36, v30
	v_mov_b32_e32 v38, v18
	;; [unrolled: 1-line block ×8, first 2 shown]
	v_pk_add_f32 v[36:37], v[36:37], v[38:39] neg_lo:[0,1] neg_hi:[0,1]
	v_pk_add_f32 v[72:73], v[12:13], v[72:73] neg_lo:[0,1] neg_hi:[0,1]
	v_pk_add_f32 v[76:77], v[76:77], v[16:17] neg_lo:[0,1] neg_hi:[0,1]
	v_pk_add_f32 v[40:41], v[40:41], v[42:43]
	v_pk_mul_f32 v[28:29], v[28:29], s[4:5]
	v_pk_mul_f32 v[38:39], v[36:37], s[14:15]
	v_pk_add_f32 v[18:19], v[18:19], v[34:35]
	v_pk_add_f32 v[42:43], v[74:75], v[40:41]
	v_pk_mul_f32 v[72:73], v[72:73], s[20:21]
	v_pk_mul_f32 v[74:75], v[76:77], s[22:23]
	v_mov_b32_e32 v16, v33
	v_mov_b32_e32 v12, v15
	v_pk_add_f32 v[18:19], v[18:19], v[30:31]
	v_pk_fma_f32 v[76:77], v[76:77], s[22:23], v[72:73]
	v_pk_fma_f32 v[36:37], v[36:37], s[14:15], v[28:29]
	v_pk_add_f32 v[30:31], v[34:35], v[30:31] neg_lo:[0,1] neg_hi:[0,1]
	v_pk_add_f32 v[12:13], v[16:17], v[12:13] neg_lo:[0,1] neg_hi:[0,1]
	v_mov_b32_e32 v14, v74
	v_mov_b32_e32 v15, v73
	;; [unrolled: 1-line block ×6, first 2 shown]
	v_pk_fma_f32 v[40:41], v[40:41], s[24:25], v[42:43] op_sel_hi:[1,0,1] neg_lo:[1,0,0] neg_hi:[1,0,0]
	v_pk_fma_f32 v[14:15], v[12:13], s[18:19], v[14:15] op_sel_hi:[1,0,1] neg_lo:[1,0,1] neg_hi:[1,0,1]
	v_pk_fma_f32 v[16:17], v[30:31], s[16:17], v[16:17] op_sel_hi:[1,0,1] neg_lo:[1,0,1] neg_hi:[1,0,1]
	v_pk_fma_f32 v[12:13], v[12:13], s[18:19], v[72:73] op_sel_hi:[1,0,1] neg_lo:[0,0,1] neg_hi:[0,0,1]
	v_pk_fma_f32 v[28:29], v[30:31], s[16:17], v[28:29] op_sel_hi:[1,0,1] neg_lo:[0,0,1] neg_hi:[0,0,1]
	v_pk_add_f32 v[76:77], v[76:77], v[40:41]
	v_pk_fma_f32 v[36:37], v[18:19], s[0:1], v[36:37] op_sel_hi:[1,0,1]
	v_pk_add_f32 v[14:15], v[14:15], v[40:41]
	v_pk_fma_f32 v[16:17], v[18:19], s[0:1], v[16:17] op_sel_hi:[1,0,1]
	;; [unrolled: 2-line block ×3, first 2 shown]
	v_pk_add_f32 v[78:79], v[76:77], v[36:37]
	v_pk_add_f32 v[36:37], v[76:77], v[36:37] neg_lo:[0,1] neg_hi:[0,1]
	v_pk_add_f32 v[32:33], v[14:15], v[16:17]
	v_pk_add_f32 v[14:15], v[14:15], v[16:17] neg_lo:[0,1] neg_hi:[0,1]
	v_pk_add_f32 v[28:29], v[12:13], v[18:19] neg_lo:[0,1] neg_hi:[0,1]
	v_pk_add_f32 v[12:13], v[12:13], v[18:19]
	v_mov_b32_e32 v136, v48
	v_mov_b32_e32 v137, v48
	;; [unrolled: 1-line block ×46, first 2 shown]
	ds_write_b64 v184, v[92:93] offset:2304
	ds_write2_b64 v185, v[42:43], v[76:77] offset1:48
	ds_write2_b64 v185, v[16:17], v[18:19] offset0:96 offset1:144
	ds_write2_b64 v185, v[12:13], v[14:15] offset0:192 offset1:240
	ds_write_b64 v185, v[36:37] offset:2304
	s_and_saveexec_b64 s[24:25], s[2:3]
	s_cbranch_execz .LBB0_47
; %bb.46:
	v_mov_b32_e32 v34, v3
	v_mov_b32_e32 v35, v7
	;; [unrolled: 1-line block ×4, first 2 shown]
	v_pk_mul_f32 v[34:35], v[34:35], v[36:37]
	v_mov_b32_e32 v37, v8
	v_mov_b32_e32 v43, v9
	v_pk_mul_f32 v[8:9], v[8:9], v[26:27]
	v_mov_b32_e32 v29, v6
	v_pk_mul_f32 v[6:7], v[6:7], v[20:21]
	v_mov_b32_e32 v20, v8
	v_mov_b32_e32 v8, v11
	;; [unrolled: 1-line block ×5, first 2 shown]
	v_pk_mul_f32 v[8:9], v[8:9], v[140:141]
	v_mov_b32_e32 v14, v5
	v_mov_b32_e32 v15, v3
	;; [unrolled: 1-line block ×8, first 2 shown]
	v_pk_fma_f32 v[8:9], v[10:11], v[142:143], v[8:9] neg_lo:[0,0,1] neg_hi:[0,0,1]
	v_mov_b32_e32 v10, v5
	v_mov_b32_e32 v12, v4
	;; [unrolled: 1-line block ×3, first 2 shown]
	v_pk_mul_f32 v[14:15], v[14:15], v[160:161]
	v_mov_b32_e32 v17, v0
	v_pk_mul_f32 v[18:19], v[18:19], v[142:143]
	v_mov_b32_e32 v28, v2
	v_mov_b32_e32 v30, v161
	;; [unrolled: 1-line block ×7, first 2 shown]
	v_pk_mul_f32 v[42:43], v[42:43], v[72:73]
	v_pk_mul_f32 v[10:11], v[10:11], v[158:159]
	v_pk_add_f32 v[6:7], v[20:21], v[6:7]
	v_pk_fma_f32 v[4:5], v[4:5], v[160:161], v[10:11] neg_lo:[0,0,1] neg_hi:[0,0,1]
	v_pk_fma_f32 v[26:27], v[16:17], v[140:141], v[18:19]
	v_pk_fma_f32 v[16:17], v[16:17], v[140:141], v[18:19] neg_lo:[0,0,1] neg_hi:[0,0,1]
	v_pk_fma_f32 v[18:19], v[12:13], v[158:159], v[14:15]
	;; [unrolled: 2-line block ×4, first 2 shown]
	v_pk_fma_f32 v[28:29], v[28:29], v[32:33], v[34:35] neg_lo:[0,0,1] neg_hi:[0,0,1]
	v_pk_add_f32 v[10:11], v[8:9], v[4:5]
	v_mov_b32_e32 v20, v7
	v_mov_b32_e32 v27, v17
	;; [unrolled: 1-line block ×7, first 2 shown]
	v_pk_add_f32 v[20:21], v[6:7], v[20:21]
	v_pk_add_f32 v[30:31], v[26:27], v[18:19]
	;; [unrolled: 1-line block ×3, first 2 shown]
	v_pk_add_f32 v[4:5], v[4:5], v[8:9] neg_lo:[0,1] neg_hi:[0,1]
	v_mov_b32_e32 v8, v13
	v_mov_b32_e32 v9, v2
	;; [unrolled: 1-line block ×7, first 2 shown]
	v_pk_add_f32 v[0:1], v[8:9], v[2:3] neg_lo:[0,1] neg_hi:[0,1]
	v_mov_b32_e32 v2, v29
	v_mov_b32_e32 v3, v7
	;; [unrolled: 1-line block ×4, first 2 shown]
	v_pk_add_f32 v[38:39], v[38:39], v[20:21] neg_lo:[0,1] neg_hi:[0,1]
	v_mov_b32_e32 v21, v33
	v_mov_b32_e32 v40, v30
	;; [unrolled: 1-line block ×3, first 2 shown]
	v_pk_add_f32 v[2:3], v[2:3], v[8:9] neg_lo:[0,1] neg_hi:[0,1]
	v_pk_add_f32 v[34:35], v[30:31], v[32:33] neg_lo:[0,1] neg_hi:[0,1]
	v_pk_add_f32 v[10:11], v[20:21], v[40:41]
	v_mov_b32_e32 v33, v31
	v_mov_b32_e32 v12, v0
	;; [unrolled: 1-line block ×5, first 2 shown]
	v_pk_add_f32 v[10:11], v[32:33], v[10:11]
	v_mov_b32_e32 v6, v4
	v_mov_b32_e32 v7, v1
	;; [unrolled: 1-line block ×4, first 2 shown]
	v_pk_add_f32 v[12:13], v[12:13], v[14:15] neg_lo:[0,1] neg_hi:[0,1]
	v_pk_mul_f32 v[38:39], v[38:39], s[20:21]
	v_pk_add_f32 v[30:31], v[68:69], v[10:11]
	s_mov_b32 s2, 0xbf955555
	v_pk_add_f32 v[6:7], v[6:7], v[8:9] neg_lo:[0,1] neg_hi:[0,1]
	v_pk_mul_f32 v[12:13], v[12:13], s[4:5]
	v_pk_add_f32 v[0:1], v[0:1], v[2:3]
	v_pk_mul_f32 v[36:37], v[34:35], s[22:23]
	v_pk_fma_f32 v[34:35], v[34:35], s[22:23], v[38:39]
	v_pk_fma_f32 v[10:11], v[10:11], s[2:3], v[30:31] op_sel_hi:[1,0,1]
	v_pk_mul_f32 v[8:9], v[6:7], s[14:15]
	v_pk_fma_f32 v[6:7], v[6:7], s[14:15], v[12:13]
	v_pk_add_f32 v[0:1], v[0:1], v[4:5]
	v_pk_add_f32 v[32:33], v[34:35], v[10:11]
	v_pk_fma_f32 v[6:7], v[0:1], s[0:1], v[6:7] op_sel_hi:[1,0,1]
	v_pk_add_f32 v[2:3], v[2:3], v[4:5] neg_lo:[0,1] neg_hi:[0,1]
	v_pk_add_f32 v[14:15], v[32:33], v[6:7] neg_lo:[0,1] neg_hi:[0,1]
	v_pk_add_f32 v[6:7], v[32:33], v[6:7]
	v_mov_b32_e32 v17, v15
	v_mov_b32_e32 v16, v6
	v_add_u32_e32 v6, 0x2800, v182
	v_mov_b32_e32 v4, v8
	v_mov_b32_e32 v5, v13
	;; [unrolled: 1-line block ×3, first 2 shown]
	ds_write2_b64 v6, v[30:31], v[16:17] offset0:64 offset1:112
	v_mov_b32_e32 v16, v36
	v_mov_b32_e32 v17, v39
	v_pk_add_f32 v[18:19], v[20:21], v[40:41] neg_lo:[0,1] neg_hi:[0,1]
	v_pk_fma_f32 v[4:5], v[2:3], s[16:17], v[4:5] op_sel_hi:[1,0,1] neg_lo:[1,0,1] neg_hi:[1,0,1]
	v_pk_fma_f32 v[2:3], v[2:3], s[16:17], v[12:13] op_sel_hi:[1,0,1] neg_lo:[0,0,1] neg_hi:[0,0,1]
	v_mov_b32_e32 v39, v37
	v_pk_fma_f32 v[16:17], v[18:19], s[18:19], v[16:17] op_sel_hi:[1,0,1] neg_lo:[1,0,1] neg_hi:[1,0,1]
	v_pk_fma_f32 v[4:5], v[0:1], s[0:1], v[4:5] op_sel_hi:[1,0,1]
	v_pk_fma_f32 v[0:1], v[0:1], s[0:1], v[2:3] op_sel_hi:[1,0,1]
	v_pk_fma_f32 v[2:3], v[18:19], s[18:19], v[38:39] op_sel_hi:[1,0,1] neg_lo:[0,0,1] neg_hi:[0,0,1]
	v_pk_add_f32 v[16:17], v[16:17], v[10:11]
	v_pk_add_f32 v[2:3], v[2:3], v[10:11]
	v_pk_add_f32 v[20:21], v[16:17], v[4:5] neg_lo:[0,1] neg_hi:[0,1]
	v_pk_add_f32 v[4:5], v[16:17], v[4:5]
	v_pk_add_f32 v[8:9], v[2:3], v[0:1]
	v_pk_add_f32 v[0:1], v[2:3], v[0:1] neg_lo:[0,1] neg_hi:[0,1]
	v_mov_b32_e32 v16, v4
	v_mov_b32_e32 v17, v21
	;; [unrolled: 1-line block ×6, first 2 shown]
	v_add_u32_e32 v0, 0x3000, v182
	v_mov_b32_e32 v15, v7
	ds_write2_b64 v6, v[16:17], v[2:3] offset0:160 offset1:208
	ds_write2_b64 v0, v[8:9], v[20:21] offset1:48
	ds_write_b64 v182, v[14:15] offset:13056
.LBB0_47:
	s_or_b64 exec, exec, s[24:25]
	v_add_u32_e32 v68, 0x400, v102
	s_waitcnt lgkmcnt(0)
	s_barrier
	ds_read2_b64 v[8:11], v68 offset0:96 offset1:208
	v_add_u32_e32 v69, 0x1400, v102
	ds_read2_b64 v[12:15], v69 offset0:32 offset1:144
	v_add_u32_e32 v16, 0x1800, v102
	;; [unrolled: 2-line block ×3, first 2 shown]
	s_waitcnt lgkmcnt(2)
	v_pk_mul_f32 v[20:21], v[64:65], v[10:11]
	ds_read2_b64 v[26:29], v72 offset0:64 offset1:176
	v_pk_fma_f32 v[30:31], v[156:157], v[10:11], v[20:21] op_sel:[0,0,1] op_sel_hi:[1,1,0]
	v_pk_fma_f32 v[10:11], v[156:157], v[10:11], v[20:21] op_sel:[0,0,1] op_sel_hi:[1,1,0] neg_lo:[0,0,1] neg_hi:[0,0,1]
	ds_read2_b64 v[4:7], v102 offset1:112
	v_mov_b32_e32 v31, v11
	s_waitcnt lgkmcnt(3)
	v_pk_mul_f32 v[10:11], v[66:67], v[12:13]
	s_mov_b32 s2, 0x3f737871
	v_pk_fma_f32 v[32:33], v[154:155], v[12:13], v[10:11] op_sel:[0,0,1] op_sel_hi:[1,1,0]
	v_pk_fma_f32 v[10:11], v[154:155], v[12:13], v[10:11] op_sel:[0,0,1] op_sel_hi:[1,1,0] neg_lo:[0,0,1] neg_hi:[0,0,1]
	s_mov_b32 s4, 0x3f167918
	v_mov_b32_e32 v33, v11
	s_waitcnt lgkmcnt(2)
	v_pk_mul_f32 v[10:11], v[60:61], v[18:19]
	v_add_u32_e32 v60, 0xc00, v102
	v_pk_fma_f32 v[34:35], v[152:153], v[18:19], v[10:11] op_sel:[0,0,1] op_sel_hi:[1,1,0]
	v_pk_fma_f32 v[10:11], v[152:153], v[18:19], v[10:11] op_sel:[0,0,1] op_sel_hi:[1,1,0] neg_lo:[0,0,1] neg_hi:[0,0,1]
	v_mad_u64_u32 v[2:3], s[0:1], s10, v126, 0
	v_mov_b32_e32 v35, v11
	s_waitcnt lgkmcnt(1)
	v_pk_mul_f32 v[10:11], v[62:63], v[26:27]
	s_mov_b32 s0, 0x3e9e377a
	v_pk_fma_f32 v[36:37], v[150:151], v[26:27], v[10:11] op_sel:[0,0,1] op_sel_hi:[1,1,0]
	v_pk_fma_f32 v[10:11], v[150:151], v[26:27], v[10:11] op_sel:[0,0,1] op_sel_hi:[1,1,0] neg_lo:[0,0,1] neg_hi:[0,0,1]
	v_mov_b32_e32 v0, s12
	v_mov_b32_e32 v37, v11
	s_waitcnt lgkmcnt(0)
	v_pk_add_f32 v[10:11], v[4:5], v[30:31]
	v_mov_b32_e32 v1, s13
	v_pk_add_f32 v[18:19], v[10:11], v[32:33]
	ds_read2_b64 v[10:13], v60 offset0:64 offset1:176
	v_pk_add_f32 v[18:19], v[18:19], v[34:35]
	s_waitcnt lgkmcnt(0)
	v_pk_mul_f32 v[38:39], v[56:57], v[10:11]
	v_pk_add_f32 v[26:27], v[18:19], v[36:37]
	v_add_u32_e32 v18, 0x2000, v102
	ds_read2_b64 v[18:21], v18 offset0:96 offset1:208
	v_pk_fma_f32 v[40:41], v[148:149], v[10:11], v[38:39] op_sel:[0,0,1] op_sel_hi:[1,1,0]
	v_pk_fma_f32 v[10:11], v[148:149], v[10:11], v[38:39] op_sel:[0,0,1] op_sel_hi:[1,1,0] neg_lo:[0,0,1] neg_hi:[0,0,1]
	v_pk_mul_f32 v[42:43], v[48:49], v[12:13]
	v_mov_b32_e32 v41, v11
	v_pk_mul_f32 v[10:11], v[58:59], v[14:15]
	v_pk_fma_f32 v[48:49], v[136:137], v[12:13], v[42:43] op_sel:[0,0,1] op_sel_hi:[1,1,0]
	v_pk_fma_f32 v[38:39], v[146:147], v[14:15], v[10:11] op_sel:[0,0,1] op_sel_hi:[1,1,0]
	v_pk_fma_f32 v[10:11], v[146:147], v[14:15], v[10:11] op_sel:[0,0,1] op_sel_hi:[1,1,0] neg_lo:[0,0,1] neg_hi:[0,0,1]
	v_pk_fma_f32 v[12:13], v[136:137], v[12:13], v[42:43] op_sel:[0,0,1] op_sel_hi:[1,1,0] neg_lo:[0,0,1] neg_hi:[0,0,1]
	v_mov_b32_e32 v39, v11
	s_waitcnt lgkmcnt(0)
	v_pk_mul_f32 v[10:11], v[52:53], v[18:19]
	v_mov_b32_e32 v49, v13
	v_pk_fma_f32 v[14:15], v[144:145], v[18:19], v[10:11] op_sel:[0,0,1] op_sel_hi:[1,1,0]
	v_pk_fma_f32 v[10:11], v[144:145], v[18:19], v[10:11] op_sel:[0,0,1] op_sel_hi:[1,1,0] neg_lo:[0,0,1] neg_hi:[0,0,1]
	v_pk_mul_f32 v[12:13], v[50:51], v[16:17]
	v_mov_b32_e32 v15, v11
	v_pk_mul_f32 v[10:11], v[54:55], v[28:29]
	v_pk_fma_f32 v[42:43], v[70:71], v[16:17], v[12:13] op_sel:[0,0,1] op_sel_hi:[1,1,0]
	v_pk_fma_f32 v[18:19], v[138:139], v[28:29], v[10:11] op_sel:[0,0,1] op_sel_hi:[1,1,0]
	v_pk_fma_f32 v[10:11], v[138:139], v[28:29], v[10:11] op_sel:[0,0,1] op_sel_hi:[1,1,0] neg_lo:[0,0,1] neg_hi:[0,0,1]
	ds_read_b64 v[28:29], v102 offset:12544
	v_pk_fma_f32 v[12:13], v[70:71], v[16:17], v[12:13] op_sel:[0,0,1] op_sel_hi:[1,1,0] neg_lo:[0,0,1] neg_hi:[0,0,1]
	v_pk_add_f32 v[50:51], v[30:31], v[32:33] neg_lo:[0,1] neg_hi:[0,1]
	v_mov_b32_e32 v43, v13
	v_pk_mul_f32 v[12:13], v[44:45], v[20:21]
	v_pk_add_f32 v[44:45], v[32:33], v[34:35] neg_lo:[0,1] neg_hi:[0,1]
	v_pk_fma_f32 v[16:17], v[24:25], v[20:21], v[12:13] op_sel:[0,0,1] op_sel_hi:[1,1,0]
	v_pk_fma_f32 v[12:13], v[24:25], v[20:21], v[12:13] op_sel:[0,0,1] op_sel_hi:[1,1,0] neg_lo:[0,0,1] neg_hi:[0,0,1]
	v_pk_add_f32 v[24:25], v[30:31], v[36:37] neg_lo:[0,1] neg_hi:[0,1]
	v_mov_b32_e32 v17, v13
	s_waitcnt lgkmcnt(0)
	v_pk_mul_f32 v[12:13], v[46:47], v[28:29]
	v_pk_add_f32 v[52:53], v[36:37], v[34:35] neg_lo:[0,1] neg_hi:[0,1]
	v_pk_fma_f32 v[20:21], v[22:23], v[28:29], v[12:13] op_sel:[0,0,1] op_sel_hi:[1,1,0]
	v_pk_fma_f32 v[12:13], v[22:23], v[28:29], v[12:13] op_sel:[0,0,1] op_sel_hi:[1,1,0] neg_lo:[0,0,1] neg_hi:[0,0,1]
	v_pk_add_f32 v[22:23], v[32:33], v[34:35]
	v_pk_mul_f32 v[28:29], v[24:25], s[2:3] op_sel_hi:[1,0]
	v_pk_fma_f32 v[22:23], v[22:23], 0.5, v[4:5] op_sel_hi:[1,0,1] neg_lo:[1,0,0] neg_hi:[1,0,0]
	v_pk_mul_f32 v[46:47], v[44:45], s[4:5] op_sel_hi:[1,0]
	v_pk_add_f32 v[50:51], v[50:51], v[52:53]
	v_pk_add_f32 v[52:53], v[22:23], v[28:29] op_sel:[0,1] op_sel_hi:[1,0] neg_lo:[0,1] neg_hi:[0,1]
	v_pk_add_f32 v[22:23], v[22:23], v[28:29] op_sel:[0,1] op_sel_hi:[1,0]
	v_pk_add_f32 v[28:29], v[52:53], v[46:47] op_sel:[0,1] op_sel_hi:[1,0] neg_lo:[0,1] neg_hi:[0,1]
	v_pk_add_f32 v[22:23], v[22:23], v[46:47] op_sel:[0,1] op_sel_hi:[1,0]
	v_mov_b32_e32 v46, v28
	v_mov_b32_e32 v47, v23
	;; [unrolled: 1-line block ×3, first 2 shown]
	v_pk_fma_f32 v[22:23], v[50:51], s[0:1], v[22:23] op_sel_hi:[1,0,1]
	v_pk_fma_f32 v[46:47], v[50:51], s[0:1], v[46:47] op_sel_hi:[1,0,1]
	ds_write_b64 v102, v[22:23] offset:10752
	ds_write_b64 v102, v[46:47] offset:2688
	v_pk_add_f32 v[22:23], v[30:31], v[36:37]
	v_pk_add_f32 v[28:29], v[34:35], v[36:37] neg_lo:[0,1] neg_hi:[0,1]
	v_pk_fma_f32 v[4:5], v[22:23], 0.5, v[4:5] op_sel_hi:[1,0,1] neg_lo:[1,0,0] neg_hi:[1,0,0]
	v_pk_add_f32 v[22:23], v[32:33], v[30:31] neg_lo:[0,1] neg_hi:[0,1]
	v_mov_b32_e32 v19, v11
	v_pk_add_f32 v[22:23], v[22:23], v[28:29]
	v_pk_mul_f32 v[28:29], v[44:45], s[2:3] op_sel_hi:[1,0]
	v_pk_add_f32 v[10:11], v[6:7], v[40:41]
	v_pk_mul_f32 v[24:25], v[24:25], s[4:5] op_sel_hi:[1,0]
	v_pk_add_f32 v[30:31], v[4:5], v[28:29] op_sel:[0,1] op_sel_hi:[1,0]
	v_pk_add_f32 v[4:5], v[4:5], v[28:29] op_sel:[0,1] op_sel_hi:[1,0] neg_lo:[0,1] neg_hi:[0,1]
	v_pk_add_f32 v[10:11], v[10:11], v[38:39]
	v_pk_add_f32 v[4:5], v[4:5], v[24:25] op_sel:[0,1] op_sel_hi:[1,0]
	v_pk_add_f32 v[24:25], v[30:31], v[24:25] op_sel:[0,1] op_sel_hi:[1,0] neg_lo:[0,1] neg_hi:[0,1]
	v_pk_add_f32 v[10:11], v[10:11], v[14:15]
	v_mov_b32_e32 v28, v24
	v_mov_b32_e32 v29, v5
	v_mov_b32_e32 v5, v25
	v_pk_add_f32 v[10:11], v[10:11], v[18:19]
	v_pk_fma_f32 v[28:29], v[22:23], s[0:1], v[28:29] op_sel_hi:[1,0,1]
	v_pk_fma_f32 v[4:5], v[22:23], s[0:1], v[4:5] op_sel_hi:[1,0,1]
	ds_write_b64 v102, v[28:29] offset:5376
	ds_write_b64 v102, v[4:5] offset:8064
	ds_write2_b64 v102, v[26:27], v[10:11] offset1:112
	v_pk_add_f32 v[4:5], v[38:39], v[14:15]
	v_pk_add_f32 v[10:11], v[40:41], v[18:19] neg_lo:[0,1] neg_hi:[0,1]
	v_pk_fma_f32 v[4:5], v[4:5], 0.5, v[6:7] op_sel_hi:[1,0,1] neg_lo:[1,0,0] neg_hi:[1,0,0]
	v_pk_mul_f32 v[22:23], v[10:11], s[2:3] op_sel_hi:[1,0]
	v_pk_add_f32 v[24:25], v[38:39], v[14:15] neg_lo:[0,1] neg_hi:[0,1]
	v_pk_add_f32 v[28:29], v[40:41], v[38:39] neg_lo:[0,1] neg_hi:[0,1]
	;; [unrolled: 1-line block ×3, first 2 shown]
	v_pk_mul_f32 v[26:27], v[24:25], s[4:5] op_sel_hi:[1,0]
	v_pk_add_f32 v[28:29], v[28:29], v[30:31]
	v_pk_add_f32 v[30:31], v[4:5], v[22:23] op_sel:[0,1] op_sel_hi:[1,0] neg_lo:[0,1] neg_hi:[0,1]
	v_pk_add_f32 v[4:5], v[4:5], v[22:23] op_sel:[0,1] op_sel_hi:[1,0]
	v_pk_add_f32 v[22:23], v[30:31], v[26:27] op_sel:[0,1] op_sel_hi:[1,0] neg_lo:[0,1] neg_hi:[0,1]
	v_pk_add_f32 v[4:5], v[4:5], v[26:27] op_sel:[0,1] op_sel_hi:[1,0]
	v_pk_add_f32 v[14:15], v[14:15], v[18:19] neg_lo:[0,1] neg_hi:[0,1]
	v_mov_b32_e32 v27, v5
	v_mov_b32_e32 v5, v23
	v_pk_fma_f32 v[4:5], v[28:29], s[0:1], v[4:5] op_sel_hi:[1,0,1]
	ds_write_b64 v102, v[4:5] offset:11648
	v_pk_add_f32 v[4:5], v[40:41], v[18:19]
	v_pk_mul_f32 v[10:11], v[10:11], s[4:5] op_sel_hi:[1,0]
	v_pk_fma_f32 v[4:5], v[4:5], 0.5, v[6:7] op_sel_hi:[1,0,1] neg_lo:[1,0,0] neg_hi:[1,0,0]
	v_pk_add_f32 v[6:7], v[38:39], v[40:41] neg_lo:[0,1] neg_hi:[0,1]
	v_mov_b32_e32 v21, v13
	v_pk_add_f32 v[6:7], v[6:7], v[14:15]
	v_pk_mul_f32 v[14:15], v[24:25], s[2:3] op_sel_hi:[1,0]
	v_pk_add_f32 v[12:13], v[8:9], v[48:49]
	v_pk_add_f32 v[18:19], v[4:5], v[14:15] op_sel:[0,1] op_sel_hi:[1,0]
	v_pk_add_f32 v[4:5], v[4:5], v[14:15] op_sel:[0,1] op_sel_hi:[1,0] neg_lo:[0,1] neg_hi:[0,1]
	v_pk_add_f32 v[12:13], v[12:13], v[42:43]
	v_pk_add_f32 v[4:5], v[4:5], v[10:11] op_sel:[0,1] op_sel_hi:[1,0]
	v_pk_add_f32 v[10:11], v[18:19], v[10:11] op_sel:[0,1] op_sel_hi:[1,0] neg_lo:[0,1] neg_hi:[0,1]
	v_mov_b32_e32 v15, v5
	v_mov_b32_e32 v5, v11
	v_pk_add_f32 v[12:13], v[12:13], v[16:17]
	v_mov_b32_e32 v14, v10
	v_pk_fma_f32 v[4:5], v[6:7], s[0:1], v[4:5] op_sel_hi:[1,0,1]
	v_pk_add_f32 v[12:13], v[12:13], v[20:21]
	v_pk_fma_f32 v[14:15], v[6:7], s[0:1], v[14:15] op_sel_hi:[1,0,1]
	ds_write_b64 v102, v[4:5] offset:8960
	ds_write_b64 v102, v[14:15] offset:6272
	ds_write_b64 v102, v[12:13] offset:1792
	v_pk_add_f32 v[4:5], v[42:43], v[16:17]
	v_pk_add_f32 v[6:7], v[48:49], v[20:21] neg_lo:[0,1] neg_hi:[0,1]
	v_mov_b32_e32 v26, v22
	v_pk_fma_f32 v[4:5], v[4:5], 0.5, v[8:9] op_sel_hi:[1,0,1] neg_lo:[1,0,0] neg_hi:[1,0,0]
	v_pk_mul_f32 v[10:11], v[6:7], s[2:3] op_sel_hi:[1,0]
	v_pk_add_f32 v[12:13], v[42:43], v[16:17] neg_lo:[0,1] neg_hi:[0,1]
	v_pk_add_f32 v[18:19], v[48:49], v[42:43] neg_lo:[0,1] neg_hi:[0,1]
	;; [unrolled: 1-line block ×3, first 2 shown]
	v_pk_mul_f32 v[14:15], v[12:13], s[4:5] op_sel_hi:[1,0]
	v_pk_add_f32 v[18:19], v[18:19], v[22:23]
	v_pk_add_f32 v[22:23], v[4:5], v[10:11] op_sel:[0,1] op_sel_hi:[1,0] neg_lo:[0,1] neg_hi:[0,1]
	v_pk_add_f32 v[4:5], v[4:5], v[10:11] op_sel:[0,1] op_sel_hi:[1,0]
	v_pk_add_f32 v[10:11], v[22:23], v[14:15] op_sel:[0,1] op_sel_hi:[1,0] neg_lo:[0,1] neg_hi:[0,1]
	v_pk_add_f32 v[4:5], v[4:5], v[14:15] op_sel:[0,1] op_sel_hi:[1,0]
	v_mov_b32_e32 v14, v10
	v_mov_b32_e32 v15, v5
	v_pk_fma_f32 v[26:27], v[28:29], s[0:1], v[26:27] op_sel_hi:[1,0,1]
	v_pk_fma_f32 v[14:15], v[18:19], s[0:1], v[14:15] op_sel_hi:[1,0,1]
	ds_write2_b64 v60, v[26:27], v[14:15] offset0:64 offset1:176
	v_pk_add_f32 v[14:15], v[48:49], v[20:21]
	v_pk_add_f32 v[16:17], v[16:17], v[20:21] neg_lo:[0,1] neg_hi:[0,1]
	v_pk_fma_f32 v[8:9], v[14:15], 0.5, v[8:9] op_sel_hi:[1,0,1] neg_lo:[1,0,0] neg_hi:[1,0,0]
	v_pk_add_f32 v[14:15], v[42:43], v[48:49] neg_lo:[0,1] neg_hi:[0,1]
	v_pk_mul_f32 v[12:13], v[12:13], s[2:3] op_sel_hi:[1,0]
	v_pk_add_f32 v[14:15], v[14:15], v[16:17]
	v_pk_mul_f32 v[6:7], v[6:7], s[4:5] op_sel_hi:[1,0]
	v_pk_add_f32 v[16:17], v[8:9], v[12:13] op_sel:[0,1] op_sel_hi:[1,0]
	v_pk_add_f32 v[8:9], v[8:9], v[12:13] op_sel:[0,1] op_sel_hi:[1,0] neg_lo:[0,1] neg_hi:[0,1]
	v_mov_b32_e32 v5, v11
	v_pk_add_f32 v[8:9], v[8:9], v[6:7] op_sel:[0,1] op_sel_hi:[1,0]
	v_pk_add_f32 v[6:7], v[16:17], v[6:7] op_sel:[0,1] op_sel_hi:[1,0] neg_lo:[0,1] neg_hi:[0,1]
	v_mov_b32_e32 v13, v9
	v_mov_b32_e32 v12, v6
	;; [unrolled: 1-line block ×3, first 2 shown]
	v_pk_fma_f32 v[12:13], v[14:15], s[0:1], v[12:13] op_sel_hi:[1,0,1]
	v_pk_fma_f32 v[6:7], v[14:15], s[0:1], v[8:9] op_sel_hi:[1,0,1]
	;; [unrolled: 1-line block ×3, first 2 shown]
	ds_write_b64 v102, v[12:13] offset:7168
	ds_write_b64 v102, v[6:7] offset:9856
	;; [unrolled: 1-line block ×3, first 2 shown]
	s_waitcnt lgkmcnt(0)
	s_barrier
	ds_read2_b64 v[4:7], v102 offset1:112
	v_mov_b32_e32 v8, v3
	v_mad_u64_u32 v[8:9], s[0:1], s11, v126, v[8:9]
	v_mov_b32_e32 v3, v8
	s_waitcnt lgkmcnt(0)
	v_mul_f32_e32 v8, v135, v5
	v_fmac_f32_e32 v8, v134, v4
	v_mul_f32_e32 v4, v135, v4
	s_mov_b32 s0, 0x13813814
	v_fma_f32 v4, v134, v5, -v4
	s_mov_b32 s1, 0x3f438138
	v_cvt_f64_f32_e32 v[4:5], v4
	v_cvt_f64_f32_e32 v[8:9], v8
	v_mul_f64 v[4:5], v[4:5], s[0:1]
	v_mul_f64 v[8:9], v[8:9], s[0:1]
	v_cvt_f32_f64_e32 v13, v[4:5]
	v_mad_u64_u32 v[4:5], s[2:3], s8, v116, 0
	v_cvt_f32_f64_e32 v12, v[8:9]
	v_mov_b32_e32 v8, v5
	v_mad_u64_u32 v[14:15], s[2:3], s9, v116, v[8:9]
	ds_read2_b64 v[8:11], v69 offset0:32 offset1:200
	v_lshl_add_u64 v[0:1], v[2:3], 3, v[0:1]
	v_mov_b32_e32 v5, v14
	s_mul_i32 s2, s9, 0x348
	s_mul_hi_u32 s3, s8, 0x348
	s_waitcnt lgkmcnt(0)
	v_mul_f32_e32 v2, v133, v11
	v_fmac_f32_e32 v2, v132, v10
	v_cvt_f64_f32_e32 v[2:3], v2
	v_mul_f64 v[2:3], v[2:3], s[0:1]
	v_cvt_f32_f64_e32 v2, v[2:3]
	v_mul_f32_e32 v3, v133, v10
	v_fma_f32 v3, v132, v11, -v3
	v_lshl_add_u64 v[0:1], v[4:5], 3, v[0:1]
	v_cvt_f64_f32_e32 v[4:5], v3
	s_add_i32 s3, s3, s2
	s_mul_i32 s2, s8, 0x348
	v_mul_f64 v[4:5], v[4:5], s[0:1]
	s_lshl_b64 s[10:11], s[2:3], 3
	global_store_dwordx2 v[0:1], v[12:13], off
	v_cvt_f32_f64_e32 v3, v[4:5]
	v_lshl_add_u64 v[4:5], v[0:1], 0, s[10:11]
	v_mul_f32_e32 v0, v131, v7
	v_fmac_f32_e32 v0, v130, v6
	v_cvt_f64_f32_e32 v[0:1], v0
	v_mul_f64 v[0:1], v[0:1], s[0:1]
	v_cvt_f32_f64_e32 v10, v[0:1]
	v_mul_f32_e32 v0, v131, v6
	v_fma_f32 v0, v130, v7, -v0
	v_cvt_f64_f32_e32 v[0:1], v0
	v_mul_f64 v[0:1], v[0:1], s[0:1]
	v_cvt_f32_f64_e32 v11, v[0:1]
	v_add_u32_e32 v0, 0x1c00, v102
	global_store_dwordx2 v[4:5], v[2:3], off
	ds_read2_b64 v[0:3], v0 offset0:56 offset1:168
	s_mul_hi_u32 s5, s8, 0xfffffd28
	s_mul_i32 s4, s9, 0xfffffd28
	s_sub_i32 s5, s5, s8
	s_add_i32 s5, s5, s4
	s_mul_i32 s4, s8, 0xfffffd28
	s_lshl_b64 s[8:9], s[4:5], 3
	v_lshl_add_u64 v[12:13], v[4:5], 0, s[8:9]
	s_waitcnt lgkmcnt(0)
	v_mul_f32_e32 v4, v129, v1
	v_fmac_f32_e32 v4, v128, v0
	v_cvt_f64_f32_e32 v[4:5], v4
	v_mul_f64 v[4:5], v[4:5], s[0:1]
	global_store_dwordx2 v[12:13], v[10:11], off
	v_cvt_f32_f64_e32 v10, v[4:5]
	v_mul_f32_e32 v0, v129, v0
	ds_read2_b64 v[4:7], v68 offset0:96 offset1:208
	v_fma_f32 v0, v128, v1, -v0
	v_cvt_f64_f32_e32 v[0:1], v0
	v_mul_f64 v[0:1], v[0:1], s[0:1]
	v_cvt_f32_f64_e32 v11, v[0:1]
	v_lshl_add_u64 v[0:1], v[12:13], 0, s[10:11]
	global_store_dwordx2 v[0:1], v[10:11], off
	s_waitcnt lgkmcnt(0)
	v_mul_f32_e32 v10, v123, v5
	v_fmac_f32_e32 v10, v122, v4
	v_mul_f32_e32 v4, v123, v4
	v_fma_f32 v4, v122, v5, -v4
	v_cvt_f64_f32_e32 v[10:11], v10
	v_cvt_f64_f32_e32 v[4:5], v4
	v_mul_f64 v[10:11], v[10:11], s[0:1]
	v_mul_f64 v[4:5], v[4:5], s[0:1]
	v_cvt_f32_f64_e32 v10, v[10:11]
	v_cvt_f32_f64_e32 v11, v[4:5]
	v_mul_f32_e32 v4, v125, v3
	v_lshl_add_u64 v[0:1], v[0:1], 0, s[8:9]
	v_fmac_f32_e32 v4, v124, v2
	v_mul_f32_e32 v2, v125, v2
	global_store_dwordx2 v[0:1], v[10:11], off
	v_fma_f32 v2, v124, v3, -v2
	v_lshl_add_u64 v[10:11], v[0:1], 0, s[10:11]
	v_mul_f32_e32 v0, v121, v7
	v_cvt_f64_f32_e32 v[4:5], v4
	v_cvt_f64_f32_e32 v[2:3], v2
	v_fmac_f32_e32 v0, v120, v6
	v_mul_f64 v[4:5], v[4:5], s[0:1]
	v_mul_f64 v[2:3], v[2:3], s[0:1]
	v_cvt_f64_f32_e32 v[0:1], v0
	v_cvt_f32_f64_e32 v4, v[4:5]
	v_cvt_f32_f64_e32 v5, v[2:3]
	v_mul_f64 v[0:1], v[0:1], s[0:1]
	global_store_dwordx2 v[10:11], v[4:5], off
	v_cvt_f32_f64_e32 v4, v[0:1]
	v_mul_f32_e32 v0, v121, v6
	v_fma_f32 v0, v120, v7, -v0
	v_cvt_f64_f32_e32 v[6:7], v0
	v_add_u32_e32 v0, 0x2400, v102
	ds_read2_b64 v[0:3], v0 offset0:24 offset1:136
	v_mul_f64 v[6:7], v[6:7], s[0:1]
	v_cvt_f32_f64_e32 v5, v[6:7]
	v_lshl_add_u64 v[10:11], v[10:11], 0, s[8:9]
	global_store_dwordx2 v[10:11], v[4:5], off
	s_waitcnt lgkmcnt(0)
	v_mul_f32_e32 v4, v119, v1
	v_fmac_f32_e32 v4, v118, v0
	v_cvt_f64_f32_e32 v[4:5], v4
	v_mul_f64 v[4:5], v[4:5], s[0:1]
	v_cvt_f32_f64_e32 v12, v[4:5]
	ds_read2_b64 v[4:7], v60 offset0:64 offset1:176
	v_mul_f32_e32 v0, v119, v0
	v_fma_f32 v0, v118, v1, -v0
	v_cvt_f64_f32_e32 v[0:1], v0
	v_mul_f64 v[0:1], v[0:1], s[0:1]
	v_cvt_f32_f64_e32 v13, v[0:1]
	v_lshl_add_u64 v[0:1], v[10:11], 0, s[10:11]
	s_waitcnt lgkmcnt(0)
	v_mul_f32_e32 v10, v115, v5
	v_fmac_f32_e32 v10, v114, v4
	v_mul_f32_e32 v4, v115, v4
	v_fma_f32 v4, v114, v5, -v4
	v_cvt_f64_f32_e32 v[10:11], v10
	v_cvt_f64_f32_e32 v[4:5], v4
	v_mul_f64 v[10:11], v[10:11], s[0:1]
	v_mul_f64 v[4:5], v[4:5], s[0:1]
	v_cvt_f32_f64_e32 v10, v[10:11]
	v_cvt_f32_f64_e32 v11, v[4:5]
	v_mul_f32_e32 v4, v113, v3
	global_store_dwordx2 v[0:1], v[12:13], off
	v_lshl_add_u64 v[0:1], v[0:1], 0, s[8:9]
	v_fmac_f32_e32 v4, v112, v2
	v_mul_f32_e32 v2, v113, v2
	global_store_dwordx2 v[0:1], v[10:11], off
	v_fma_f32 v2, v112, v3, -v2
	v_lshl_add_u64 v[10:11], v[0:1], 0, s[10:11]
	v_mul_f32_e32 v0, v111, v7
	v_cvt_f64_f32_e32 v[4:5], v4
	v_cvt_f64_f32_e32 v[2:3], v2
	v_fmac_f32_e32 v0, v110, v6
	v_mul_f64 v[4:5], v[4:5], s[0:1]
	v_mul_f64 v[2:3], v[2:3], s[0:1]
	v_cvt_f64_f32_e32 v[0:1], v0
	v_cvt_f32_f64_e32 v4, v[4:5]
	v_cvt_f32_f64_e32 v5, v[2:3]
	v_mul_f64 v[0:1], v[0:1], s[0:1]
	global_store_dwordx2 v[10:11], v[4:5], off
	v_cvt_f32_f64_e32 v4, v[0:1]
	v_mul_f32_e32 v0, v111, v6
	v_fma_f32 v0, v110, v7, -v0
	v_cvt_f64_f32_e32 v[6:7], v0
	ds_read2_b64 v[0:3], v72 offset0:120 offset1:232
	v_mul_f64 v[6:7], v[6:7], s[0:1]
	v_cvt_f32_f64_e32 v5, v[6:7]
	v_lshl_add_u64 v[6:7], v[10:11], 0, s[8:9]
	global_store_dwordx2 v[6:7], v[4:5], off
	s_waitcnt lgkmcnt(0)
	v_mul_f32_e32 v4, v109, v1
	v_fmac_f32_e32 v4, v108, v0
	v_mul_f32_e32 v0, v109, v0
	v_fma_f32 v0, v108, v1, -v0
	v_cvt_f64_f32_e32 v[4:5], v4
	v_cvt_f64_f32_e32 v[0:1], v0
	v_mul_f64 v[4:5], v[4:5], s[0:1]
	v_mul_f64 v[0:1], v[0:1], s[0:1]
	v_cvt_f32_f64_e32 v4, v[4:5]
	v_cvt_f32_f64_e32 v5, v[0:1]
	v_lshl_add_u64 v[0:1], v[6:7], 0, s[10:11]
	global_store_dwordx2 v[0:1], v[4:5], off
	v_mul_f32_e32 v4, v107, v9
	v_fmac_f32_e32 v4, v106, v8
	v_cvt_f64_f32_e32 v[4:5], v4
	v_mul_f64 v[4:5], v[4:5], s[0:1]
	v_cvt_f32_f64_e32 v4, v[4:5]
	v_mul_f32_e32 v5, v107, v8
	v_fma_f32 v5, v106, v9, -v5
	v_cvt_f64_f32_e32 v[6:7], v5
	v_mul_f64 v[6:7], v[6:7], s[0:1]
	v_cvt_f32_f64_e32 v5, v[6:7]
	v_lshl_add_u64 v[0:1], v[0:1], 0, s[8:9]
	global_store_dwordx2 v[0:1], v[4:5], off
	v_mul_f32_e32 v4, v105, v3
	v_fmac_f32_e32 v4, v104, v2
	v_mul_f32_e32 v2, v105, v2
	v_fma_f32 v2, v104, v3, -v2
	v_cvt_f64_f32_e32 v[4:5], v4
	v_cvt_f64_f32_e32 v[2:3], v2
	v_mul_f64 v[4:5], v[4:5], s[0:1]
	v_mul_f64 v[2:3], v[2:3], s[0:1]
	v_cvt_f32_f64_e32 v4, v[4:5]
	v_cvt_f32_f64_e32 v5, v[2:3]
	v_lshl_add_u64 v[0:1], v[0:1], 0, s[10:11]
	global_store_dwordx2 v[0:1], v[4:5], off
	s_and_b64 exec, exec, s[6:7]
	s_cbranch_execz .LBB0_49
; %bb.48:
	v_add_co_u32_e32 v2, vcc, 0x1000, v100
	v_lshl_add_u64 v[0:1], s[4:5], 3, v[0:1]
	s_nop 0
	v_addc_co_u32_e32 v3, vcc, 0, v101, vcc
	global_load_dwordx2 v[2:3], v[2:3], off offset:2176
	ds_read_b64 v[4:5], v102 offset:6272
	ds_read_b64 v[6:7], v102 offset:12992
	s_movk_i32 s4, 0x3000
	v_add_co_u32_e32 v8, vcc, s4, v100
	s_waitcnt vmcnt(0) lgkmcnt(1)
	v_mul_f32_e32 v10, v5, v3
	v_mul_f32_e32 v3, v4, v3
	v_fmac_f32_e32 v10, v4, v2
	v_fma_f32 v4, v2, v5, -v3
	v_cvt_f64_f32_e32 v[2:3], v10
	v_cvt_f64_f32_e32 v[4:5], v4
	v_mul_f64 v[2:3], v[2:3], s[0:1]
	v_mul_f64 v[4:5], v[4:5], s[0:1]
	v_cvt_f32_f64_e32 v2, v[2:3]
	v_cvt_f32_f64_e32 v3, v[4:5]
	v_addc_co_u32_e32 v9, vcc, 0, v101, vcc
	global_store_dwordx2 v[0:1], v[2:3], off
	global_load_dwordx2 v[2:3], v[8:9], off offset:704
	v_lshl_add_u64 v[0:1], s[2:3], 3, v[0:1]
	s_waitcnt vmcnt(0) lgkmcnt(0)
	v_mul_f32_e32 v4, v7, v3
	v_mul_f32_e32 v3, v6, v3
	v_fmac_f32_e32 v4, v6, v2
	v_fma_f32 v5, v2, v7, -v3
	v_cvt_f64_f32_e32 v[2:3], v4
	v_cvt_f64_f32_e32 v[4:5], v5
	v_mul_f64 v[2:3], v[2:3], s[0:1]
	v_mul_f64 v[4:5], v[4:5], s[0:1]
	v_cvt_f32_f64_e32 v2, v[2:3]
	v_cvt_f32_f64_e32 v3, v[4:5]
	global_store_dwordx2 v[0:1], v[2:3], off
.LBB0_49:
	s_endpgm
	.section	.rodata,"a",@progbits
	.p2align	6, 0x0
	.amdhsa_kernel bluestein_single_back_len1680_dim1_sp_op_CI_CI
		.amdhsa_group_segment_fixed_size 13440
		.amdhsa_private_segment_fixed_size 0
		.amdhsa_kernarg_size 104
		.amdhsa_user_sgpr_count 2
		.amdhsa_user_sgpr_dispatch_ptr 0
		.amdhsa_user_sgpr_queue_ptr 0
		.amdhsa_user_sgpr_kernarg_segment_ptr 1
		.amdhsa_user_sgpr_dispatch_id 0
		.amdhsa_user_sgpr_kernarg_preload_length 0
		.amdhsa_user_sgpr_kernarg_preload_offset 0
		.amdhsa_user_sgpr_private_segment_size 0
		.amdhsa_uses_dynamic_stack 0
		.amdhsa_enable_private_segment 0
		.amdhsa_system_sgpr_workgroup_id_x 1
		.amdhsa_system_sgpr_workgroup_id_y 0
		.amdhsa_system_sgpr_workgroup_id_z 0
		.amdhsa_system_sgpr_workgroup_info 0
		.amdhsa_system_vgpr_workitem_id 0
		.amdhsa_next_free_vgpr 224
		.amdhsa_next_free_sgpr 32
		.amdhsa_accum_offset 224
		.amdhsa_reserve_vcc 1
		.amdhsa_float_round_mode_32 0
		.amdhsa_float_round_mode_16_64 0
		.amdhsa_float_denorm_mode_32 3
		.amdhsa_float_denorm_mode_16_64 3
		.amdhsa_dx10_clamp 1
		.amdhsa_ieee_mode 1
		.amdhsa_fp16_overflow 0
		.amdhsa_tg_split 0
		.amdhsa_exception_fp_ieee_invalid_op 0
		.amdhsa_exception_fp_denorm_src 0
		.amdhsa_exception_fp_ieee_div_zero 0
		.amdhsa_exception_fp_ieee_overflow 0
		.amdhsa_exception_fp_ieee_underflow 0
		.amdhsa_exception_fp_ieee_inexact 0
		.amdhsa_exception_int_div_zero 0
	.end_amdhsa_kernel
	.text
.Lfunc_end0:
	.size	bluestein_single_back_len1680_dim1_sp_op_CI_CI, .Lfunc_end0-bluestein_single_back_len1680_dim1_sp_op_CI_CI
                                        ; -- End function
	.section	.AMDGPU.csdata,"",@progbits
; Kernel info:
; codeLenInByte = 18880
; NumSgprs: 38
; NumVgprs: 224
; NumAgprs: 0
; TotalNumVgprs: 224
; ScratchSize: 0
; MemoryBound: 0
; FloatMode: 240
; IeeeMode: 1
; LDSByteSize: 13440 bytes/workgroup (compile time only)
; SGPRBlocks: 4
; VGPRBlocks: 27
; NumSGPRsForWavesPerEU: 38
; NumVGPRsForWavesPerEU: 224
; AccumOffset: 224
; Occupancy: 2
; WaveLimiterHint : 1
; COMPUTE_PGM_RSRC2:SCRATCH_EN: 0
; COMPUTE_PGM_RSRC2:USER_SGPR: 2
; COMPUTE_PGM_RSRC2:TRAP_HANDLER: 0
; COMPUTE_PGM_RSRC2:TGID_X_EN: 1
; COMPUTE_PGM_RSRC2:TGID_Y_EN: 0
; COMPUTE_PGM_RSRC2:TGID_Z_EN: 0
; COMPUTE_PGM_RSRC2:TIDIG_COMP_CNT: 0
; COMPUTE_PGM_RSRC3_GFX90A:ACCUM_OFFSET: 55
; COMPUTE_PGM_RSRC3_GFX90A:TG_SPLIT: 0
	.text
	.p2alignl 6, 3212836864
	.fill 256, 4, 3212836864
	.type	__hip_cuid_3d0a1ba2a52cc76b,@object ; @__hip_cuid_3d0a1ba2a52cc76b
	.section	.bss,"aw",@nobits
	.globl	__hip_cuid_3d0a1ba2a52cc76b
__hip_cuid_3d0a1ba2a52cc76b:
	.byte	0                               ; 0x0
	.size	__hip_cuid_3d0a1ba2a52cc76b, 1

	.ident	"AMD clang version 19.0.0git (https://github.com/RadeonOpenCompute/llvm-project roc-6.4.0 25133 c7fe45cf4b819c5991fe208aaa96edf142730f1d)"
	.section	".note.GNU-stack","",@progbits
	.addrsig
	.addrsig_sym __hip_cuid_3d0a1ba2a52cc76b
	.amdgpu_metadata
---
amdhsa.kernels:
  - .agpr_count:     0
    .args:
      - .actual_access:  read_only
        .address_space:  global
        .offset:         0
        .size:           8
        .value_kind:     global_buffer
      - .actual_access:  read_only
        .address_space:  global
        .offset:         8
        .size:           8
        .value_kind:     global_buffer
      - .actual_access:  read_only
        .address_space:  global
        .offset:         16
        .size:           8
        .value_kind:     global_buffer
      - .actual_access:  read_only
        .address_space:  global
        .offset:         24
        .size:           8
        .value_kind:     global_buffer
      - .actual_access:  read_only
        .address_space:  global
        .offset:         32
        .size:           8
        .value_kind:     global_buffer
      - .offset:         40
        .size:           8
        .value_kind:     by_value
      - .address_space:  global
        .offset:         48
        .size:           8
        .value_kind:     global_buffer
      - .address_space:  global
        .offset:         56
        .size:           8
        .value_kind:     global_buffer
      - .address_space:  global
        .offset:         64
        .size:           8
        .value_kind:     global_buffer
      - .address_space:  global
        .offset:         72
        .size:           8
        .value_kind:     global_buffer
      - .offset:         80
        .size:           4
        .value_kind:     by_value
      - .address_space:  global
        .offset:         88
        .size:           8
        .value_kind:     global_buffer
      - .address_space:  global
        .offset:         96
        .size:           8
        .value_kind:     global_buffer
    .group_segment_fixed_size: 13440
    .kernarg_segment_align: 8
    .kernarg_segment_size: 104
    .language:       OpenCL C
    .language_version:
      - 2
      - 0
    .max_flat_workgroup_size: 112
    .name:           bluestein_single_back_len1680_dim1_sp_op_CI_CI
    .private_segment_fixed_size: 0
    .sgpr_count:     38
    .sgpr_spill_count: 0
    .symbol:         bluestein_single_back_len1680_dim1_sp_op_CI_CI.kd
    .uniform_work_group_size: 1
    .uses_dynamic_stack: false
    .vgpr_count:     224
    .vgpr_spill_count: 0
    .wavefront_size: 64
amdhsa.target:   amdgcn-amd-amdhsa--gfx950
amdhsa.version:
  - 1
  - 2
...

	.end_amdgpu_metadata
